;; amdgpu-corpus repo=ROCm/rocFFT kind=compiled arch=gfx1201 opt=O3
	.text
	.amdgcn_target "amdgcn-amd-amdhsa--gfx1201"
	.amdhsa_code_object_version 6
	.protected	fft_rtc_fwd_len1980_factors_11_2_3_3_5_2_wgs_198_tpt_198_halfLds_dp_ip_CI_sbrr_dirReg ; -- Begin function fft_rtc_fwd_len1980_factors_11_2_3_3_5_2_wgs_198_tpt_198_halfLds_dp_ip_CI_sbrr_dirReg
	.globl	fft_rtc_fwd_len1980_factors_11_2_3_3_5_2_wgs_198_tpt_198_halfLds_dp_ip_CI_sbrr_dirReg
	.p2align	8
	.type	fft_rtc_fwd_len1980_factors_11_2_3_3_5_2_wgs_198_tpt_198_halfLds_dp_ip_CI_sbrr_dirReg,@function
fft_rtc_fwd_len1980_factors_11_2_3_3_5_2_wgs_198_tpt_198_halfLds_dp_ip_CI_sbrr_dirReg: ; @fft_rtc_fwd_len1980_factors_11_2_3_3_5_2_wgs_198_tpt_198_halfLds_dp_ip_CI_sbrr_dirReg
; %bb.0:
	s_clause 0x2
	s_load_b64 s[12:13], s[0:1], 0x18
	s_load_b128 s[4:7], s[0:1], 0x0
	s_load_b64 s[10:11], s[0:1], 0x50
	v_mul_u32_u24_e32 v1, 0x14b, v0
	v_mov_b32_e32 v3, 0
	s_delay_alu instid0(VALU_DEP_2) | instskip(NEXT) | instid1(VALU_DEP_1)
	v_lshrrev_b32_e32 v1, 16, v1
	v_add_nc_u32_e32 v5, ttmp9, v1
	v_mov_b32_e32 v1, 0
	v_mov_b32_e32 v2, 0
	;; [unrolled: 1-line block ×3, first 2 shown]
	s_wait_kmcnt 0x0
	s_load_b64 s[8:9], s[12:13], 0x0
	v_cmp_lt_u64_e64 s2, s[6:7], 2
	s_delay_alu instid0(VALU_DEP_1)
	s_and_b32 vcc_lo, exec_lo, s2
	s_cbranch_vccnz .LBB0_8
; %bb.1:
	s_load_b64 s[2:3], s[0:1], 0x10
	v_mov_b32_e32 v1, 0
	v_mov_b32_e32 v2, 0
	s_add_nc_u64 s[14:15], s[12:13], 8
	s_mov_b64 s[16:17], 1
	s_wait_kmcnt 0x0
	s_add_nc_u64 s[18:19], s[2:3], 8
	s_mov_b32 s3, 0
.LBB0_2:                                ; =>This Inner Loop Header: Depth=1
	s_load_b64 s[20:21], s[18:19], 0x0
                                        ; implicit-def: $vgpr7_vgpr8
	s_mov_b32 s2, exec_lo
	s_wait_kmcnt 0x0
	v_or_b32_e32 v4, s21, v6
	s_delay_alu instid0(VALU_DEP_1)
	v_cmpx_ne_u64_e32 0, v[3:4]
	s_wait_alu 0xfffe
	s_xor_b32 s22, exec_lo, s2
	s_cbranch_execz .LBB0_4
; %bb.3:                                ;   in Loop: Header=BB0_2 Depth=1
	s_cvt_f32_u32 s2, s20
	s_cvt_f32_u32 s23, s21
	s_sub_nc_u64 s[26:27], 0, s[20:21]
	s_wait_alu 0xfffe
	s_delay_alu instid0(SALU_CYCLE_1) | instskip(SKIP_1) | instid1(SALU_CYCLE_2)
	s_fmamk_f32 s2, s23, 0x4f800000, s2
	s_wait_alu 0xfffe
	v_s_rcp_f32 s2, s2
	s_delay_alu instid0(TRANS32_DEP_1) | instskip(SKIP_1) | instid1(SALU_CYCLE_2)
	s_mul_f32 s2, s2, 0x5f7ffffc
	s_wait_alu 0xfffe
	s_mul_f32 s23, s2, 0x2f800000
	s_wait_alu 0xfffe
	s_delay_alu instid0(SALU_CYCLE_2) | instskip(SKIP_1) | instid1(SALU_CYCLE_2)
	s_trunc_f32 s23, s23
	s_wait_alu 0xfffe
	s_fmamk_f32 s2, s23, 0xcf800000, s2
	s_cvt_u32_f32 s25, s23
	s_wait_alu 0xfffe
	s_delay_alu instid0(SALU_CYCLE_1) | instskip(SKIP_1) | instid1(SALU_CYCLE_2)
	s_cvt_u32_f32 s24, s2
	s_wait_alu 0xfffe
	s_mul_u64 s[28:29], s[26:27], s[24:25]
	s_wait_alu 0xfffe
	s_mul_hi_u32 s31, s24, s29
	s_mul_i32 s30, s24, s29
	s_mul_hi_u32 s2, s24, s28
	s_mul_i32 s33, s25, s28
	s_wait_alu 0xfffe
	s_add_nc_u64 s[30:31], s[2:3], s[30:31]
	s_mul_hi_u32 s23, s25, s28
	s_mul_hi_u32 s34, s25, s29
	s_add_co_u32 s2, s30, s33
	s_wait_alu 0xfffe
	s_add_co_ci_u32 s2, s31, s23
	s_mul_i32 s28, s25, s29
	s_add_co_ci_u32 s29, s34, 0
	s_wait_alu 0xfffe
	s_add_nc_u64 s[28:29], s[2:3], s[28:29]
	s_wait_alu 0xfffe
	v_add_co_u32 v4, s2, s24, s28
	s_delay_alu instid0(VALU_DEP_1) | instskip(SKIP_1) | instid1(VALU_DEP_1)
	s_cmp_lg_u32 s2, 0
	s_add_co_ci_u32 s25, s25, s29
	v_readfirstlane_b32 s24, v4
	s_wait_alu 0xfffe
	s_delay_alu instid0(VALU_DEP_1)
	s_mul_u64 s[26:27], s[26:27], s[24:25]
	s_wait_alu 0xfffe
	s_mul_hi_u32 s29, s24, s27
	s_mul_i32 s28, s24, s27
	s_mul_hi_u32 s2, s24, s26
	s_mul_i32 s30, s25, s26
	s_wait_alu 0xfffe
	s_add_nc_u64 s[28:29], s[2:3], s[28:29]
	s_mul_hi_u32 s23, s25, s26
	s_mul_hi_u32 s24, s25, s27
	s_wait_alu 0xfffe
	s_add_co_u32 s2, s28, s30
	s_add_co_ci_u32 s2, s29, s23
	s_mul_i32 s26, s25, s27
	s_add_co_ci_u32 s27, s24, 0
	s_wait_alu 0xfffe
	s_add_nc_u64 s[26:27], s[2:3], s[26:27]
	s_wait_alu 0xfffe
	v_add_co_u32 v4, s2, v4, s26
	s_delay_alu instid0(VALU_DEP_1) | instskip(SKIP_1) | instid1(VALU_DEP_1)
	s_cmp_lg_u32 s2, 0
	s_add_co_ci_u32 s2, s25, s27
	v_mul_hi_u32 v13, v5, v4
	s_wait_alu 0xfffe
	v_mad_co_u64_u32 v[7:8], null, v5, s2, 0
	v_mad_co_u64_u32 v[9:10], null, v6, v4, 0
	;; [unrolled: 1-line block ×3, first 2 shown]
	s_delay_alu instid0(VALU_DEP_3) | instskip(SKIP_1) | instid1(VALU_DEP_4)
	v_add_co_u32 v4, vcc_lo, v13, v7
	s_wait_alu 0xfffd
	v_add_co_ci_u32_e32 v7, vcc_lo, 0, v8, vcc_lo
	s_delay_alu instid0(VALU_DEP_2) | instskip(SKIP_1) | instid1(VALU_DEP_2)
	v_add_co_u32 v4, vcc_lo, v4, v9
	s_wait_alu 0xfffd
	v_add_co_ci_u32_e32 v4, vcc_lo, v7, v10, vcc_lo
	s_wait_alu 0xfffd
	v_add_co_ci_u32_e32 v7, vcc_lo, 0, v12, vcc_lo
	s_delay_alu instid0(VALU_DEP_2) | instskip(SKIP_1) | instid1(VALU_DEP_2)
	v_add_co_u32 v4, vcc_lo, v4, v11
	s_wait_alu 0xfffd
	v_add_co_ci_u32_e32 v9, vcc_lo, 0, v7, vcc_lo
	s_delay_alu instid0(VALU_DEP_2) | instskip(SKIP_1) | instid1(VALU_DEP_3)
	v_mul_lo_u32 v10, s21, v4
	v_mad_co_u64_u32 v[7:8], null, s20, v4, 0
	v_mul_lo_u32 v11, s20, v9
	s_delay_alu instid0(VALU_DEP_2) | instskip(NEXT) | instid1(VALU_DEP_2)
	v_sub_co_u32 v7, vcc_lo, v5, v7
	v_add3_u32 v8, v8, v11, v10
	s_delay_alu instid0(VALU_DEP_1) | instskip(SKIP_1) | instid1(VALU_DEP_1)
	v_sub_nc_u32_e32 v10, v6, v8
	s_wait_alu 0xfffd
	v_subrev_co_ci_u32_e64 v10, s2, s21, v10, vcc_lo
	v_add_co_u32 v11, s2, v4, 2
	s_wait_alu 0xf1ff
	v_add_co_ci_u32_e64 v12, s2, 0, v9, s2
	v_sub_co_u32 v13, s2, v7, s20
	v_sub_co_ci_u32_e32 v8, vcc_lo, v6, v8, vcc_lo
	s_wait_alu 0xf1ff
	v_subrev_co_ci_u32_e64 v10, s2, 0, v10, s2
	s_delay_alu instid0(VALU_DEP_3) | instskip(NEXT) | instid1(VALU_DEP_3)
	v_cmp_le_u32_e32 vcc_lo, s20, v13
	v_cmp_eq_u32_e64 s2, s21, v8
	s_wait_alu 0xfffd
	v_cndmask_b32_e64 v13, 0, -1, vcc_lo
	v_cmp_le_u32_e32 vcc_lo, s21, v10
	s_wait_alu 0xfffd
	v_cndmask_b32_e64 v14, 0, -1, vcc_lo
	v_cmp_le_u32_e32 vcc_lo, s20, v7
	;; [unrolled: 3-line block ×3, first 2 shown]
	s_wait_alu 0xfffd
	v_cndmask_b32_e64 v15, 0, -1, vcc_lo
	v_cmp_eq_u32_e32 vcc_lo, s21, v10
	s_wait_alu 0xf1ff
	s_delay_alu instid0(VALU_DEP_2)
	v_cndmask_b32_e64 v7, v15, v7, s2
	s_wait_alu 0xfffd
	v_cndmask_b32_e32 v10, v14, v13, vcc_lo
	v_add_co_u32 v13, vcc_lo, v4, 1
	s_wait_alu 0xfffd
	v_add_co_ci_u32_e32 v14, vcc_lo, 0, v9, vcc_lo
	s_delay_alu instid0(VALU_DEP_3) | instskip(SKIP_2) | instid1(VALU_DEP_3)
	v_cmp_ne_u32_e32 vcc_lo, 0, v10
	s_wait_alu 0xfffd
	v_cndmask_b32_e32 v10, v13, v11, vcc_lo
	v_cndmask_b32_e32 v8, v14, v12, vcc_lo
	v_cmp_ne_u32_e32 vcc_lo, 0, v7
	s_wait_alu 0xfffd
	s_delay_alu instid0(VALU_DEP_2)
	v_dual_cndmask_b32 v7, v4, v10 :: v_dual_cndmask_b32 v8, v9, v8
.LBB0_4:                                ;   in Loop: Header=BB0_2 Depth=1
	s_wait_alu 0xfffe
	s_and_not1_saveexec_b32 s2, s22
	s_cbranch_execz .LBB0_6
; %bb.5:                                ;   in Loop: Header=BB0_2 Depth=1
	v_cvt_f32_u32_e32 v4, s20
	s_sub_co_i32 s22, 0, s20
	s_delay_alu instid0(VALU_DEP_1) | instskip(NEXT) | instid1(TRANS32_DEP_1)
	v_rcp_iflag_f32_e32 v4, v4
	v_mul_f32_e32 v4, 0x4f7ffffe, v4
	s_delay_alu instid0(VALU_DEP_1) | instskip(SKIP_1) | instid1(VALU_DEP_1)
	v_cvt_u32_f32_e32 v4, v4
	s_wait_alu 0xfffe
	v_mul_lo_u32 v7, s22, v4
	s_delay_alu instid0(VALU_DEP_1) | instskip(NEXT) | instid1(VALU_DEP_1)
	v_mul_hi_u32 v7, v4, v7
	v_add_nc_u32_e32 v4, v4, v7
	s_delay_alu instid0(VALU_DEP_1) | instskip(NEXT) | instid1(VALU_DEP_1)
	v_mul_hi_u32 v4, v5, v4
	v_mul_lo_u32 v7, v4, s20
	v_add_nc_u32_e32 v8, 1, v4
	s_delay_alu instid0(VALU_DEP_2) | instskip(NEXT) | instid1(VALU_DEP_1)
	v_sub_nc_u32_e32 v7, v5, v7
	v_subrev_nc_u32_e32 v9, s20, v7
	v_cmp_le_u32_e32 vcc_lo, s20, v7
	s_wait_alu 0xfffd
	s_delay_alu instid0(VALU_DEP_2) | instskip(NEXT) | instid1(VALU_DEP_1)
	v_dual_cndmask_b32 v7, v7, v9 :: v_dual_cndmask_b32 v4, v4, v8
	v_cmp_le_u32_e32 vcc_lo, s20, v7
	s_delay_alu instid0(VALU_DEP_2) | instskip(SKIP_1) | instid1(VALU_DEP_1)
	v_add_nc_u32_e32 v8, 1, v4
	s_wait_alu 0xfffd
	v_dual_cndmask_b32 v7, v4, v8 :: v_dual_mov_b32 v8, v3
.LBB0_6:                                ;   in Loop: Header=BB0_2 Depth=1
	s_wait_alu 0xfffe
	s_or_b32 exec_lo, exec_lo, s2
	s_load_b64 s[22:23], s[14:15], 0x0
	s_delay_alu instid0(VALU_DEP_1)
	v_mul_lo_u32 v4, v8, s20
	v_mul_lo_u32 v11, v7, s21
	v_mad_co_u64_u32 v[9:10], null, v7, s20, 0
	s_add_nc_u64 s[16:17], s[16:17], 1
	s_add_nc_u64 s[14:15], s[14:15], 8
	s_wait_alu 0xfffe
	v_cmp_ge_u64_e64 s2, s[16:17], s[6:7]
	s_add_nc_u64 s[18:19], s[18:19], 8
	s_delay_alu instid0(VALU_DEP_2) | instskip(NEXT) | instid1(VALU_DEP_3)
	v_add3_u32 v4, v10, v11, v4
	v_sub_co_u32 v5, vcc_lo, v5, v9
	s_wait_alu 0xfffd
	s_delay_alu instid0(VALU_DEP_2) | instskip(SKIP_3) | instid1(VALU_DEP_2)
	v_sub_co_ci_u32_e32 v4, vcc_lo, v6, v4, vcc_lo
	s_and_b32 vcc_lo, exec_lo, s2
	s_wait_kmcnt 0x0
	v_mul_lo_u32 v6, s23, v5
	v_mul_lo_u32 v4, s22, v4
	v_mad_co_u64_u32 v[1:2], null, s22, v5, v[1:2]
	s_delay_alu instid0(VALU_DEP_1)
	v_add3_u32 v2, v6, v2, v4
	s_wait_alu 0xfffe
	s_cbranch_vccnz .LBB0_9
; %bb.7:                                ;   in Loop: Header=BB0_2 Depth=1
	v_dual_mov_b32 v5, v7 :: v_dual_mov_b32 v6, v8
	s_branch .LBB0_2
.LBB0_8:
	v_dual_mov_b32 v8, v6 :: v_dual_mov_b32 v7, v5
.LBB0_9:
	s_lshl_b64 s[2:3], s[6:7], 3
	v_mul_hi_u32 v3, 0x14afd6b, v0
	s_wait_alu 0xfffe
	s_add_nc_u64 s[2:3], s[12:13], s[2:3]
                                        ; implicit-def: $vgpr10_vgpr11
                                        ; implicit-def: $vgpr14_vgpr15
                                        ; implicit-def: $vgpr18_vgpr19
                                        ; implicit-def: $vgpr22_vgpr23
                                        ; implicit-def: $vgpr30_vgpr31
                                        ; implicit-def: $vgpr42_vgpr43
                                        ; implicit-def: $vgpr34_vgpr35
                                        ; implicit-def: $vgpr38_vgpr39
                                        ; implicit-def: $vgpr26_vgpr27
	s_load_b64 s[2:3], s[2:3], 0x0
	s_load_b64 s[0:1], s[0:1], 0x20
	s_delay_alu instid0(VALU_DEP_1) | instskip(NEXT) | instid1(VALU_DEP_1)
	v_mul_u32_u24_e32 v3, 0xc6, v3
	v_sub_nc_u32_e32 v64, v0, v3
	s_wait_kmcnt 0x0
	v_mul_lo_u32 v4, s2, v8
	v_mul_lo_u32 v5, s3, v7
	v_mad_co_u64_u32 v[1:2], null, s2, v7, v[1:2]
	v_cmp_gt_u64_e32 vcc_lo, s[0:1], v[7:8]
	v_cmp_gt_u32_e64 s0, 0xb4, v64
                                        ; implicit-def: $vgpr6_vgpr7
	s_delay_alu instid0(VALU_DEP_1) | instskip(NEXT) | instid1(VALU_DEP_3)
	s_and_b32 s1, vcc_lo, s0
	v_add3_u32 v2, v5, v2, v4
	s_delay_alu instid0(VALU_DEP_1)
	v_lshlrev_b64_e32 v[66:67], 4, v[1:2]
                                        ; implicit-def: $vgpr2_vgpr3
	s_wait_alu 0xfffe
	s_and_saveexec_b32 s2, s1
	s_cbranch_execz .LBB0_11
; %bb.10:
	v_add_nc_u32_e32 v9, 0xb4, v64
	v_mad_co_u64_u32 v[0:1], null, s8, v64, 0
	v_add_nc_u32_e32 v14, 0x21c, v64
	v_add_co_u32 v21, s1, s10, v66
	s_delay_alu instid0(VALU_DEP_4) | instskip(SKIP_3) | instid1(VALU_DEP_3)
	v_mad_co_u64_u32 v[2:3], null, s8, v9, 0
	s_wait_alu 0xf1ff
	v_add_co_ci_u32_e64 v22, s1, s11, v67, s1
	v_add_nc_u32_e32 v20, 0x5a0, v64
	v_mad_co_u64_u32 v[6:7], null, s9, v64, v[1:2]
	v_add_nc_u32_e32 v12, 0x168, v64
	v_mad_co_u64_u32 v[7:8], null, s8, v14, 0
	s_delay_alu instid0(VALU_DEP_3) | instskip(NEXT) | instid1(VALU_DEP_3)
	v_mov_b32_e32 v1, v6
	v_mad_co_u64_u32 v[4:5], null, s8, v12, 0
	s_delay_alu instid0(VALU_DEP_3) | instskip(NEXT) | instid1(VALU_DEP_3)
	v_mov_b32_e32 v6, v8
	v_lshlrev_b64_e32 v[0:1], 4, v[0:1]
	s_delay_alu instid0(VALU_DEP_3) | instskip(NEXT) | instid1(VALU_DEP_2)
	v_mad_co_u64_u32 v[9:10], null, s9, v9, v[3:4]
	v_add_co_u32 v0, s1, v21, v0
	s_wait_alu 0xf1ff
	s_delay_alu instid0(VALU_DEP_3) | instskip(NEXT) | instid1(VALU_DEP_3)
	v_add_co_ci_u32_e64 v1, s1, v22, v1, s1
	v_mov_b32_e32 v3, v9
	v_mad_co_u64_u32 v[8:9], null, s9, v12, v[5:6]
	v_add_nc_u32_e32 v16, 0x2d0, v64
	s_delay_alu instid0(VALU_DEP_3) | instskip(NEXT) | instid1(VALU_DEP_3)
	v_lshlrev_b64_e32 v[2:3], 4, v[2:3]
	v_mov_b32_e32 v5, v8
	s_delay_alu instid0(VALU_DEP_3)
	v_mad_co_u64_u32 v[10:11], null, s8, v16, 0
	v_add_nc_u32_e32 v17, 0x384, v64
	v_mad_co_u64_u32 v[8:9], null, s9, v14, v[6:7]
	v_add_co_u32 v12, s1, v21, v2
	s_wait_alu 0xf1ff
	v_add_co_ci_u32_e64 v13, s1, v22, v3, s1
	v_mov_b32_e32 v6, v11
	v_mad_co_u64_u32 v[14:15], null, s8, v17, 0
	s_clause 0x1
	global_load_b128 v[0:3], v[0:1], off
	global_load_b128 v[24:27], v[12:13], off
	v_lshlrev_b64_e32 v[4:5], 4, v[4:5]
	v_mad_co_u64_u32 v[11:12], null, s9, v16, v[6:7]
	v_lshlrev_b64_e32 v[7:8], 4, v[7:8]
	v_mov_b32_e32 v6, v15
	s_delay_alu instid0(VALU_DEP_4) | instskip(SKIP_2) | instid1(VALU_DEP_3)
	v_add_co_u32 v4, s1, v21, v4
	s_wait_alu 0xf1ff
	v_add_co_ci_u32_e64 v5, s1, v22, v5, s1
	v_mad_co_u64_u32 v[12:13], null, s9, v17, v[6:7]
	v_add_nc_u32_e32 v13, 0x438, v64
	v_add_co_u32 v6, s1, v21, v7
	s_wait_alu 0xf1ff
	v_add_co_ci_u32_e64 v7, s1, v22, v8, s1
	v_lshlrev_b64_e32 v[8:9], 4, v[10:11]
	v_mad_co_u64_u32 v[10:11], null, s8, v13, 0
	v_mov_b32_e32 v15, v12
	s_clause 0x1
	global_load_b128 v[36:39], v[4:5], off
	global_load_b128 v[32:35], v[6:7], off
	v_add_co_u32 v4, s1, v21, v8
	s_wait_alu 0xf1ff
	v_add_co_ci_u32_e64 v5, s1, v22, v9, s1
	v_mov_b32_e32 v6, v11
	v_lshlrev_b64_e32 v[7:8], 4, v[14:15]
	v_mad_co_u64_u32 v[14:15], null, s8, v20, 0
	v_add_nc_u32_e32 v18, 0x4ec, v64
	s_delay_alu instid0(VALU_DEP_3) | instskip(SKIP_1) | instid1(VALU_DEP_4)
	v_mad_co_u64_u32 v[11:12], null, s9, v13, v[6:7]
	v_add_co_u32 v6, s1, v21, v7
	v_mov_b32_e32 v9, v15
	s_delay_alu instid0(VALU_DEP_4)
	v_mad_co_u64_u32 v[12:13], null, s8, v18, 0
	s_wait_alu 0xf1ff
	v_add_co_ci_u32_e64 v7, s1, v22, v8, s1
	v_add_nc_u32_e32 v23, 0x654, v64
	s_clause 0x1
	global_load_b128 v[40:43], v[4:5], off
	global_load_b128 v[28:31], v[6:7], off
	v_lshlrev_b64_e32 v[5:6], 4, v[10:11]
	v_mov_b32_e32 v8, v13
	v_mad_co_u64_u32 v[16:17], null, s8, v23, 0
	s_delay_alu instid0(VALU_DEP_2) | instskip(NEXT) | instid1(VALU_DEP_1)
	v_mad_co_u64_u32 v[18:19], null, s9, v18, v[8:9]
	v_dual_mov_b32 v4, v17 :: v_dual_mov_b32 v13, v18
	v_mad_co_u64_u32 v[8:9], null, s9, v20, v[9:10]
	s_delay_alu instid0(VALU_DEP_1) | instskip(NEXT) | instid1(VALU_DEP_1)
	v_dual_mov_b32 v15, v8 :: v_dual_add_nc_u32 v44, 0x708, v64
	v_mad_co_u64_u32 v[19:20], null, s8, v44, 0
	s_delay_alu instid0(VALU_DEP_4) | instskip(SKIP_4) | instid1(VALU_DEP_4)
	v_mad_co_u64_u32 v[7:8], null, s9, v23, v[4:5]
	v_add_co_u32 v5, s1, v21, v5
	v_lshlrev_b64_e32 v[8:9], 4, v[12:13]
	s_wait_alu 0xf1ff
	v_add_co_ci_u32_e64 v6, s1, v22, v6, s1
	v_dual_mov_b32 v4, v20 :: v_dual_mov_b32 v17, v7
	s_delay_alu instid0(VALU_DEP_3) | instskip(NEXT) | instid1(VALU_DEP_2)
	v_add_co_u32 v7, s1, v21, v8
	v_mad_co_u64_u32 v[10:11], null, s9, v44, v[4:5]
	v_lshlrev_b64_e32 v[11:12], 4, v[14:15]
	s_wait_alu 0xf1ff
	v_add_co_ci_u32_e64 v8, s1, v22, v9, s1
	v_lshlrev_b64_e32 v[13:14], 4, v[16:17]
	s_delay_alu instid0(VALU_DEP_4) | instskip(NEXT) | instid1(VALU_DEP_4)
	v_mov_b32_e32 v20, v10
	v_add_co_u32 v9, s1, v21, v11
	s_wait_alu 0xf1ff
	v_add_co_ci_u32_e64 v10, s1, v22, v12, s1
	s_delay_alu instid0(VALU_DEP_3) | instskip(SKIP_3) | instid1(VALU_DEP_3)
	v_lshlrev_b64_e32 v[11:12], 4, v[19:20]
	v_add_co_u32 v44, s1, v21, v13
	s_wait_alu 0xf1ff
	v_add_co_ci_u32_e64 v45, s1, v22, v14, s1
	v_add_co_u32 v46, s1, v21, v11
	s_wait_alu 0xf1ff
	v_add_co_ci_u32_e64 v47, s1, v22, v12, s1
	s_clause 0x4
	global_load_b128 v[20:23], v[5:6], off
	global_load_b128 v[16:19], v[7:8], off
	;; [unrolled: 1-line block ×5, first 2 shown]
.LBB0_11:
	s_wait_alu 0xfffe
	s_or_b32 exec_lo, exec_lo, s2
	s_wait_loadcnt 0x0
	v_add_f64_e32 v[54:55], v[4:5], v[24:25]
	s_mov_b32 s16, 0x8764f0ba
	s_mov_b32 s17, 0x3feaeb8c
	v_add_f64_e64 v[70:71], v[26:27], -v[6:7]
	v_add_f64_e32 v[52:53], v[8:9], v[36:37]
	s_mov_b32 s18, 0xf8bb580b
	s_mov_b32 s14, 0xd9c712b6
	s_mov_b32 s19, 0xbfe14ced
	s_mov_b32 s15, 0x3fda9628
	v_add_f64_e64 v[76:77], v[38:39], -v[10:11]
	v_add_f64_e32 v[48:49], v[12:13], v[32:33]
	s_mov_b32 s20, 0x8eee2c13
	s_mov_b32 s12, 0x640f44db
	;; [unrolled: 6-line block ×3, first 2 shown]
	s_mov_b32 s23, 0xbfefac9e
	s_mov_b32 s7, 0xbfe4f49e
	v_add_f64_e64 v[74:75], v[42:43], -v[18:19]
	s_mov_b32 s24, 0xbb3a28a1
	s_mov_b32 s2, 0x9bcd5057
	;; [unrolled: 1-line block ×4, first 2 shown]
	v_add_f64_e64 v[58:59], v[30:31], -v[22:23]
	s_mov_b32 s26, 0xfd768dbf
	s_mov_b32 s27, 0xbfd207e7
	s_wait_alu 0xfffe
	v_mul_f64_e32 v[60:61], s[16:17], v[54:55]
	v_mul_f64_e32 v[72:73], s[14:15], v[52:53]
	;; [unrolled: 1-line block ×4, first 2 shown]
	s_delay_alu instid0(VALU_DEP_4) | instskip(NEXT) | instid1(VALU_DEP_4)
	v_fma_f64 v[46:47], v[70:71], s[18:19], v[60:61]
	v_fma_f64 v[50:51], v[76:77], s[20:21], v[72:73]
	s_delay_alu instid0(VALU_DEP_4) | instskip(NEXT) | instid1(VALU_DEP_4)
	v_fma_f64 v[68:69], v[78:79], s[22:23], v[62:63]
	v_fma_f64 v[80:81], v[74:75], s[24:25], v[56:57]
	s_delay_alu instid0(VALU_DEP_4) | instskip(NEXT) | instid1(VALU_DEP_1)
	v_add_f64_e32 v[46:47], v[0:1], v[46:47]
	v_add_f64_e32 v[50:51], v[50:51], v[46:47]
	v_add_f64_e32 v[46:47], v[20:21], v[28:29]
	s_delay_alu instid0(VALU_DEP_2) | instskip(NEXT) | instid1(VALU_DEP_2)
	v_add_f64_e32 v[68:69], v[68:69], v[50:51]
	v_mul_f64_e32 v[50:51], s[2:3], v[46:47]
	s_delay_alu instid0(VALU_DEP_2) | instskip(NEXT) | instid1(VALU_DEP_2)
	v_add_f64_e32 v[68:69], v[80:81], v[68:69]
	v_fma_f64 v[80:81], v[58:59], s[26:27], v[50:51]
	s_delay_alu instid0(VALU_DEP_1)
	v_add_f64_e32 v[68:69], v[80:81], v[68:69]
	s_and_saveexec_b32 s1, s0
	s_cbranch_execz .LBB0_13
; %bb.12:
	v_add_f64_e32 v[80:81], v[24:25], v[0:1]
	v_mul_f64_e32 v[82:83], s[26:27], v[70:71]
	v_mul_f64_e32 v[84:85], s[24:25], v[70:71]
	;; [unrolled: 1-line block ×5, first 2 shown]
	s_mov_b32 s29, 0x3fe14ced
	s_mov_b32 s28, s18
	;; [unrolled: 1-line block ×6, first 2 shown]
	v_mul_f64_e32 v[90:91], s[24:25], v[76:77]
	v_mul_f64_e32 v[92:93], s[20:21], v[76:77]
	s_wait_alu 0xfffe
	v_mul_f64_e32 v[94:95], s[28:29], v[76:77]
	v_mul_f64_e32 v[96:97], s[30:31], v[76:77]
	;; [unrolled: 1-line block ×3, first 2 shown]
	s_mov_b32 s37, 0x3fed1bb4
	s_mov_b32 s36, s20
	v_mul_f64_e32 v[104:105], s[24:25], v[78:79]
	v_mul_f64_e32 v[106:107], s[18:19], v[78:79]
	v_mul_f64_e32 v[108:109], s[36:37], v[78:79]
	v_mul_f64_e32 v[116:117], s[18:19], v[74:75]
	v_mul_f64_e32 v[118:119], s[36:37], v[74:75]
	v_add_f64_e32 v[80:81], v[36:37], v[80:81]
	v_fma_f64 v[98:99], v[54:55], s[2:3], v[82:83]
	v_fma_f64 v[82:83], v[54:55], s[2:3], -v[82:83]
	v_fma_f64 v[100:101], v[54:55], s[6:7], v[84:85]
	v_fma_f64 v[84:85], v[54:55], s[6:7], -v[84:85]
	;; [unrolled: 2-line block ×3, first 2 shown]
	v_add_f64_e64 v[60:61], v[60:61], -v[88:89]
	v_fma_f64 v[88:89], v[54:55], s[14:15], -v[70:71]
	v_fma_f64 v[54:55], v[54:55], s[14:15], v[70:71]
	v_mul_f64_e32 v[70:71], s[22:23], v[78:79]
	v_mul_f64_e32 v[78:79], s[34:35], v[78:79]
	v_fma_f64 v[110:111], v[52:53], s[6:7], v[90:91]
	v_fma_f64 v[90:91], v[52:53], s[6:7], -v[90:91]
	v_add_f64_e64 v[72:73], v[72:73], -v[92:93]
	v_fma_f64 v[92:93], v[52:53], s[16:17], v[94:95]
	v_fma_f64 v[94:95], v[52:53], s[16:17], -v[94:95]
	v_fma_f64 v[112:113], v[52:53], s[12:13], v[96:97]
	v_fma_f64 v[96:97], v[52:53], s[12:13], -v[96:97]
	;; [unrolled: 2-line block ×5, first 2 shown]
	v_add_f64_e32 v[80:81], v[32:33], v[80:81]
	v_add_f64_e32 v[76:77], v[0:1], v[98:99]
	;; [unrolled: 1-line block ×10, first 2 shown]
	v_mul_f64_e32 v[54:55], s[24:25], v[74:75]
	v_mul_f64_e32 v[102:103], s[26:27], v[74:75]
	;; [unrolled: 1-line block ×3, first 2 shown]
	v_add_f64_e64 v[62:63], v[62:63], -v[70:71]
	v_fma_f64 v[70:71], v[48:49], s[6:7], v[104:105]
	v_fma_f64 v[104:105], v[48:49], s[6:7], -v[104:105]
	v_fma_f64 v[124:125], v[48:49], s[2:3], v[78:79]
	v_fma_f64 v[48:49], v[48:49], s[2:3], -v[78:79]
	v_add_f64_e32 v[80:81], v[40:41], v[80:81]
	v_add_f64_e32 v[76:77], v[92:93], v[76:77]
	;; [unrolled: 1-line block ×10, first 2 shown]
	v_mul_f64_e32 v[86:87], s[22:23], v[58:59]
	v_mul_f64_e32 v[88:89], s[24:25], v[58:59]
	;; [unrolled: 1-line block ×5, first 2 shown]
	v_add_f64_e64 v[54:55], v[56:57], -v[54:55]
	v_fma_f64 v[56:57], v[44:45], s[2:3], v[102:103]
	v_fma_f64 v[96:97], v[44:45], s[2:3], -v[102:103]
	v_fma_f64 v[98:99], v[44:45], s[16:17], v[116:117]
	v_fma_f64 v[100:101], v[44:45], s[16:17], -v[116:117]
	;; [unrolled: 2-line block ×4, first 2 shown]
	v_add_f64_e32 v[80:81], v[28:29], v[80:81]
	v_add_f64_e32 v[70:71], v[70:71], v[76:77]
	;; [unrolled: 1-line block ×10, first 2 shown]
	v_fma_f64 v[72:73], v[46:47], s[12:13], v[86:87]
	v_fma_f64 v[84:85], v[46:47], s[6:7], v[88:89]
	v_add_f64_e64 v[50:51], v[50:51], -v[90:91]
	v_fma_f64 v[90:91], v[46:47], s[14:15], -v[94:95]
	v_fma_f64 v[92:93], v[46:47], s[16:17], v[58:59]
	v_add_f64_e32 v[80:81], v[20:21], v[80:81]
	v_add_f64_e32 v[56:57], v[56:57], v[76:77]
	;; [unrolled: 1-line block ×8, first 2 shown]
	s_delay_alu instid0(VALU_DEP_4) | instskip(NEXT) | instid1(VALU_DEP_3)
	v_add_f64_e32 v[50:51], v[50:51], v[54:55]
	v_add_f64_e32 v[0:1], v[92:93], v[0:1]
	s_delay_alu instid0(VALU_DEP_3)
	v_add_f64_e32 v[62:63], v[12:13], v[80:81]
	v_fma_f64 v[80:81], v[46:47], s[12:13], -v[86:87]
	v_fma_f64 v[86:87], v[46:47], s[6:7], -v[88:89]
	v_fma_f64 v[88:89], v[46:47], s[14:15], v[94:95]
	v_fma_f64 v[46:47], v[46:47], s[16:17], -v[58:59]
	v_add_f64_e32 v[58:59], v[102:103], v[70:71]
	v_add_f64_e32 v[70:71], v[110:111], v[74:75]
	;; [unrolled: 1-line block ×12, first 2 shown]
	v_mad_u32_u24 v48, 0x58, v64, 0
	ds_store_2addr_b64 v48, v[62:63], v[60:61] offset0:4 offset1:5
	ds_store_2addr_b64 v48, v[58:59], v[56:57] offset0:6 offset1:7
	;; [unrolled: 1-line block ×3, first 2 shown]
	ds_store_2addr_b64 v48, v[46:47], v[50:51] offset1:1
	ds_store_2addr_b64 v48, v[70:71], v[0:1] offset0:8 offset1:9
	ds_store_b64 v48, v[68:69] offset:80
.LBB0_13:
	s_wait_alu 0xfffe
	s_or_b32 exec_lo, exec_lo, s1
	v_add_f64_e64 v[84:85], v[24:25], -v[4:5]
	v_add_f64_e32 v[78:79], v[6:7], v[26:27]
	v_add_f64_e64 v[82:83], v[36:37], -v[8:9]
	v_add_f64_e32 v[72:73], v[10:11], v[38:39]
	;; [unrolled: 2-line block ×4, first 2 shown]
	v_add_f64_e64 v[16:17], v[28:29], -v[20:21]
	v_lshl_add_u32 v86, v64, 3, 0
	global_wb scope:SCOPE_SE
	s_wait_dscnt 0x0
	s_barrier_signal -1
	s_barrier_wait -1
	global_inv scope:SCOPE_SE
	v_add_nc_u32_e32 v88, 0xc00, v86
	v_add_nc_u32_e32 v89, 0x3000, v86
	v_mul_f64_e32 v[80:81], s[18:19], v[84:85]
	v_mul_f64_e32 v[74:75], s[20:21], v[82:83]
	;; [unrolled: 1-line block ×4, first 2 shown]
	s_delay_alu instid0(VALU_DEP_4) | instskip(NEXT) | instid1(VALU_DEP_4)
	v_fma_f64 v[0:1], v[78:79], s[16:17], -v[80:81]
	v_fma_f64 v[8:9], v[72:73], s[14:15], -v[74:75]
	s_delay_alu instid0(VALU_DEP_4) | instskip(NEXT) | instid1(VALU_DEP_4)
	v_fma_f64 v[40:41], v[24:25], s[12:13], -v[32:33]
	v_fma_f64 v[20:21], v[4:5], s[6:7], -v[12:13]
	s_delay_alu instid0(VALU_DEP_4) | instskip(NEXT) | instid1(VALU_DEP_1)
	v_add_f64_e32 v[0:1], v[2:3], v[0:1]
	v_add_f64_e32 v[8:9], v[8:9], v[0:1]
	v_add_f64_e32 v[0:1], v[22:23], v[30:31]
	s_delay_alu instid0(VALU_DEP_2)
	v_add_f64_e32 v[28:29], v[40:41], v[8:9]
	v_mul_f64_e32 v[8:9], s[26:27], v[16:17]
	v_add_nc_u32_e32 v40, 0x1800, v86
	v_add_nc_u32_e32 v41, 0x2400, v86
	ds_load_2addr_b64 v[56:59], v86 offset1:198
	ds_load_2addr_b64 v[52:55], v40 offset0:24 offset1:222
	ds_load_2addr_b64 v[48:51], v41 offset0:36 offset1:234
	ds_load_2addr_b64 v[60:63], v88 offset0:12 offset1:210
	ds_load_2addr_b64 v[44:47], v89 offset0:48 offset1:246
	global_wb scope:SCOPE_SE
	s_wait_dscnt 0x0
	s_barrier_signal -1
	s_barrier_wait -1
	global_inv scope:SCOPE_SE
	v_add_f64_e32 v[20:21], v[20:21], v[28:29]
	v_fma_f64 v[28:29], v[0:1], s[2:3], -v[8:9]
	s_delay_alu instid0(VALU_DEP_1)
	v_add_f64_e32 v[70:71], v[28:29], v[20:21]
	s_and_saveexec_b32 s33, s0
	s_cbranch_execz .LBB0_15
; %bb.14:
	v_add_f64_e32 v[20:21], v[26:27], v[2:3]
	s_mov_b32 s20, 0xbb3a28a1
	s_mov_b32 s1, 0xbfed1bb4
	s_mov_b32 s0, 0x8eee2c13
	s_mov_b32 s21, 0xbfe82f19
	v_mul_f64_e32 v[26:27], s[16:17], v[78:79]
	s_wait_alu 0xfffe
	v_mul_f64_e32 v[28:29], s[0:1], v[84:85]
	s_mov_b32 s18, 0x7f775887
	s_mov_b32 s28, 0xf8bb580b
	;; [unrolled: 1-line block ×11, first 2 shown]
	v_mul_f64_e32 v[90:91], s[20:21], v[82:83]
	s_wait_alu 0xfffe
	v_mul_f64_e32 v[92:93], s[28:29], v[82:83]
	v_mul_f64_e32 v[94:95], s[34:35], v[82:83]
	;; [unrolled: 1-line block ×3, first 2 shown]
	s_mov_b32 s17, 0xbfc2375f
	s_mov_b32 s37, 0xbfe14ced
	;; [unrolled: 1-line block ×4, first 2 shown]
	v_mul_f64_e32 v[100:101], s[20:21], v[76:77]
	v_mul_f64_e32 v[102:103], s[34:35], v[76:77]
	s_wait_alu 0xfffe
	v_mul_f64_e32 v[104:105], s[0:1], v[76:77]
	v_mul_f64_e32 v[76:77], s[36:37], v[76:77]
	;; [unrolled: 1-line block ×3, first 2 shown]
	v_add_f64_e32 v[20:21], v[38:39], v[20:21]
	v_mul_f64_e32 v[38:39], s[26:27], v[84:85]
	v_add_f64_e32 v[26:27], v[26:27], v[80:81]
	v_fma_f64 v[80:81], v[78:79], s[14:15], v[28:29]
	v_fma_f64 v[28:29], v[78:79], s[14:15], -v[28:29]
	v_fma_f64 v[108:109], v[72:73], s[24:25], v[94:95]
	v_fma_f64 v[94:95], v[72:73], s[24:25], -v[94:95]
	v_fma_f64 v[110:111], v[72:73], s[16:17], v[82:83]
	v_fma_f64 v[114:115], v[24:25], s[24:25], v[102:103]
	v_fma_f64 v[102:103], v[24:25], s[24:25], -v[102:103]
	v_fma_f64 v[116:117], v[24:25], s[14:15], v[104:105]
	v_fma_f64 v[104:105], v[24:25], s[14:15], -v[104:105]
	v_add_f64_e32 v[20:21], v[34:35], v[20:21]
	v_mul_f64_e32 v[34:35], s[20:21], v[84:85]
	v_fma_f64 v[98:99], v[78:79], s[24:25], v[38:39]
	v_fma_f64 v[38:39], v[78:79], s[24:25], -v[38:39]
	v_add_f64_e32 v[26:27], v[2:3], v[26:27]
	v_add_f64_e32 v[80:81], v[2:3], v[80:81]
	;; [unrolled: 1-line block ×4, first 2 shown]
	v_mul_f64_e32 v[42:43], s[22:23], v[84:85]
	v_mul_f64_e32 v[84:85], s[14:15], v[72:73]
	v_fma_f64 v[96:97], v[78:79], s[18:19], v[34:35]
	v_fma_f64 v[34:35], v[78:79], s[18:19], -v[34:35]
	v_add_f64_e32 v[38:39], v[2:3], v[38:39]
	v_add_f64_e32 v[20:21], v[30:31], v[20:21]
	v_fma_f64 v[30:31], v[78:79], s[16:17], v[42:43]
	v_fma_f64 v[42:43], v[78:79], s[16:17], -v[42:43]
	v_mul_f64_e32 v[78:79], s[12:13], v[24:25]
	s_mov_b32 s12, 0x8764f0ba
	s_mov_b32 s13, 0x3feaeb8c
	v_add_f64_e32 v[74:75], v[84:85], v[74:75]
	v_fma_f64 v[84:85], v[72:73], s[18:19], v[90:91]
	v_fma_f64 v[90:91], v[72:73], s[18:19], -v[90:91]
	s_wait_alu 0xfffe
	v_fma_f64 v[106:107], v[72:73], s[12:13], v[92:93]
	v_fma_f64 v[92:93], v[72:73], s[12:13], -v[92:93]
	v_fma_f64 v[72:73], v[72:73], s[16:17], -v[82:83]
	v_add_f64_e32 v[82:83], v[2:3], v[96:97]
	v_add_f64_e32 v[34:35], v[2:3], v[34:35]
	;; [unrolled: 1-line block ×3, first 2 shown]
	v_mul_f64_e32 v[98:99], s[30:31], v[36:37]
	v_fma_f64 v[118:119], v[24:25], s[12:13], v[76:77]
	v_add_f64_e32 v[20:21], v[22:23], v[20:21]
	v_add_f64_e32 v[22:23], v[2:3], v[30:31]
	;; [unrolled: 1-line block ×3, first 2 shown]
	v_mul_f64_e32 v[30:31], s[6:7], v[4:5]
	v_mul_f64_e32 v[42:43], s[26:27], v[36:37]
	v_mul_f64_e32 v[36:37], s[0:1], v[36:37]
	v_add_f64_e32 v[32:33], v[78:79], v[32:33]
	v_fma_f64 v[78:79], v[24:25], s[18:19], v[100:101]
	v_fma_f64 v[100:101], v[24:25], s[18:19], -v[100:101]
	v_fma_f64 v[24:25], v[24:25], s[12:13], -v[76:77]
	v_add_f64_e32 v[26:27], v[74:75], v[26:27]
	v_add_f64_e32 v[74:75], v[84:85], v[80:81]
	;; [unrolled: 1-line block ×7, first 2 shown]
	v_mul_f64_e32 v[80:81], s[28:29], v[16:17]
	v_mul_f64_e32 v[82:83], s[20:21], v[16:17]
	v_mul_f64_e32 v[84:85], s[22:23], v[16:17]
	v_mul_f64_e32 v[16:17], s[0:1], v[16:17]
	v_fma_f64 v[90:91], v[4:5], s[16:17], v[98:99]
	v_fma_f64 v[92:93], v[4:5], s[16:17], -v[98:99]
	v_fma_f64 v[96:97], v[4:5], s[12:13], -v[112:113]
	v_add_f64_e32 v[18:19], v[18:19], v[20:21]
	v_add_f64_e32 v[20:21], v[108:109], v[22:23]
	v_add_f64_e32 v[2:3], v[94:95], v[2:3]
	v_mul_f64_e32 v[22:23], s[2:3], v[0:1]
	v_add_f64_e32 v[12:13], v[30:31], v[12:13]
	v_fma_f64 v[30:31], v[4:5], s[24:25], v[42:43]
	v_fma_f64 v[42:43], v[4:5], s[24:25], -v[42:43]
	v_fma_f64 v[94:95], v[4:5], s[12:13], v[112:113]
	v_fma_f64 v[98:99], v[4:5], s[14:15], v[36:37]
	v_fma_f64 v[4:5], v[4:5], s[14:15], -v[36:37]
	v_add_f64_e32 v[26:27], v[32:33], v[26:27]
	v_add_f64_e32 v[32:33], v[114:115], v[74:75]
	;; [unrolled: 1-line block ×7, first 2 shown]
	v_fma_f64 v[72:73], v[0:1], s[18:19], v[82:83]
	v_fma_f64 v[74:75], v[0:1], s[18:19], -v[82:83]
	v_fma_f64 v[76:77], v[0:1], s[16:17], v[84:85]
	v_fma_f64 v[78:79], v[0:1], s[16:17], -v[84:85]
	v_add_f64_e32 v[14:15], v[14:15], v[18:19]
	v_add_f64_e32 v[18:19], v[116:117], v[20:21]
	;; [unrolled: 1-line block ×4, first 2 shown]
	v_fma_f64 v[20:21], v[0:1], s[12:13], v[80:81]
	v_fma_f64 v[22:23], v[0:1], s[12:13], -v[80:81]
	v_fma_f64 v[80:81], v[0:1], s[14:15], v[16:17]
	v_fma_f64 v[0:1], v[0:1], s[14:15], -v[16:17]
	v_add_f64_e32 v[12:13], v[12:13], v[26:27]
	v_add_f64_e32 v[16:17], v[90:91], v[32:33]
	;; [unrolled: 1-line block ×20, first 2 shown]
	v_mad_u32_u24 v14, 0x50, v64, v86
	ds_store_2addr_b64 v14, v[18:19], v[20:21] offset0:4 offset1:5
	ds_store_2addr_b64 v14, v[4:5], v[0:1] offset0:6 offset1:7
	ds_store_2addr_b64 v14, v[6:7], v[8:9] offset1:1
	ds_store_2addr_b64 v14, v[12:13], v[10:11] offset0:2 offset1:3
	ds_store_2addr_b64 v14, v[2:3], v[16:17] offset0:8 offset1:9
	ds_store_b64 v14, v[70:71] offset:80
.LBB0_15:
	s_or_b32 exec_lo, exec_lo, s33
	v_and_b32_e32 v87, 0xff, v64
	v_add_nc_u32_e32 v83, 0xc6, v64
	v_add_nc_u32_e32 v80, 0x18c, v64
	;; [unrolled: 1-line block ×4, first 2 shown]
	v_mul_lo_u16 v0, 0x75, v87
	v_and_b32_e32 v85, 0xffff, v83
	v_and_b32_e32 v84, 0xffff, v80
	;; [unrolled: 1-line block ×4, first 2 shown]
	v_lshrrev_b16 v0, 8, v0
	v_mul_u32_u24_e32 v92, 0xba2f, v85
	v_mul_u32_u24_e32 v91, 0xba2f, v84
	;; [unrolled: 1-line block ×3, first 2 shown]
	global_wb scope:SCOPE_SE
	s_wait_dscnt 0x0
	v_sub_nc_u16 v1, v64, v0
	v_lshrrev_b32_e32 v79, 19, v92
	v_lshrrev_b32_e32 v93, 19, v91
	;; [unrolled: 1-line block ×3, first 2 shown]
	s_barrier_signal -1
	v_lshrrev_b16 v1, 1, v1
	s_barrier_wait -1
	global_inv scope:SCOPE_SE
	v_mul_lo_u16 v3, v94, 11
	v_mul_u32_u24_e32 v101, 0xb0, v93
	v_and_b32_e32 v1, 0x7f, v1
	v_mul_u32_u24_e32 v102, 0xb0, v94
	v_cmp_gt_u32_e64 s0, 0x42, v64
	v_sub_nc_u16 v3, v81, v3
	s_delay_alu instid0(VALU_DEP_4) | instskip(SKIP_2) | instid1(VALU_DEP_4)
	v_add_nc_u16 v0, v1, v0
	v_mul_u32_u24_e32 v1, 0xba2f, v2
	v_mul_lo_u16 v2, v93, 11
	v_and_b32_e32 v99, 0xffff, v3
	s_delay_alu instid0(VALU_DEP_4) | instskip(NEXT) | instid1(VALU_DEP_4)
	v_lshrrev_b16 v78, 3, v0
	v_lshrrev_b32_e32 v95, 19, v1
	v_mul_lo_u16 v1, v79, 11
	v_sub_nc_u16 v2, v80, v2
	v_lshlrev_b32_e32 v3, 4, v99
	v_mul_lo_u16 v0, v78, 11
	v_mul_lo_u16 v4, v95, 11
	v_sub_nc_u16 v1, v83, v1
	v_and_b32_e32 v98, 0xffff, v2
	v_and_b32_e32 v78, 0xffff, v78
	v_sub_nc_u16 v0, v64, v0
	v_sub_nc_u16 v4, v82, v4
	v_and_b32_e32 v97, 0xffff, v1
	v_lshlrev_b32_e32 v2, 4, v98
	v_mul_u32_u24_e32 v103, 0xb0, v95
	v_and_b32_e32 v96, 0xff, v0
	v_and_b32_e32 v100, 0xffff, v4
	v_lshlrev_b32_e32 v1, 4, v97
	v_lshlrev_b32_e32 v93, 3, v97
	;; [unrolled: 1-line block ×6, first 2 shown]
	v_mul_u32_u24_e32 v78, 0xb0, v78
	v_lshlrev_b32_e32 v98, 3, v96
	s_clause 0x4
	global_load_b128 v[16:19], v0, s[4:5]
	global_load_b128 v[20:23], v1, s[4:5]
	global_load_b128 v[24:27], v2, s[4:5]
	global_load_b128 v[28:31], v3, s[4:5]
	global_load_b128 v[32:35], v4, s[4:5]
	ds_load_2addr_b64 v[0:3], v40 offset0:24 offset1:222
	ds_load_2addr_b64 v[40:43], v41 offset0:36 offset1:234
	ds_load_2addr_b64 v[36:39], v89 offset0:48 offset1:246
	v_mul_u32_u24_e32 v79, 0xb0, v79
	v_lshlrev_b32_e32 v95, 3, v99
	v_add3_u32 v96, 0, v103, v97
	v_add3_u32 v97, 0, v78, v98
	v_add_nc_u32_e32 v89, 0x2800, v86
	v_add3_u32 v93, 0, v79, v93
	v_add3_u32 v94, 0, v101, v94
	;; [unrolled: 1-line block ×3, first 2 shown]
                                        ; implicit-def: $vgpr78_vgpr79
	s_wait_loadcnt_dscnt 0x402
	v_mul_f64_e32 v[4:5], v[2:3], v[18:19]
	s_wait_loadcnt_dscnt 0x301
	v_mul_f64_e32 v[6:7], v[40:41], v[22:23]
	s_wait_loadcnt 0x2
	v_mul_f64_e32 v[8:9], v[42:43], v[26:27]
	s_wait_loadcnt_dscnt 0x100
	v_mul_f64_e32 v[10:11], v[36:37], v[30:31]
	s_wait_loadcnt 0x0
	v_mul_f64_e32 v[12:13], v[38:39], v[34:35]
	v_fma_f64 v[4:5], v[54:55], v[16:17], -v[4:5]
	v_fma_f64 v[6:7], v[48:49], v[20:21], -v[6:7]
	;; [unrolled: 1-line block ×5, first 2 shown]
	v_add_f64_e64 v[4:5], v[56:57], -v[4:5]
	v_add_f64_e64 v[6:7], v[58:59], -v[6:7]
	;; [unrolled: 1-line block ×5, first 2 shown]
	v_fma_f64 v[12:13], v[56:57], 2.0, -v[4:5]
	v_fma_f64 v[14:15], v[58:59], 2.0, -v[6:7]
	;; [unrolled: 1-line block ×5, first 2 shown]
	ds_load_2addr_b64 v[60:63], v86 offset1:198
	ds_load_2addr_b64 v[56:59], v88 offset0:12 offset1:210
	v_add_nc_u32_e32 v88, 0x1400, v86
	global_wb scope:SCOPE_SE
	s_wait_dscnt 0x0
	s_barrier_signal -1
	s_barrier_wait -1
	global_inv scope:SCOPE_SE
	ds_store_2addr_b64 v97, v[12:13], v[4:5] offset1:11
	ds_store_2addr_b64 v93, v[14:15], v[6:7] offset1:11
	;; [unrolled: 1-line block ×5, first 2 shown]
	global_wb scope:SCOPE_SE
	s_wait_dscnt 0x0
	s_barrier_signal -1
	s_barrier_wait -1
	global_inv scope:SCOPE_SE
	ds_load_2addr_b64 v[4:7], v86 offset1:198
	ds_load_2addr_b64 v[8:11], v88 offset0:20 offset1:218
	ds_load_2addr_b64 v[12:15], v89 offset0:40 offset1:238
	ds_load_b64 v[52:53], v86 offset:3168
	ds_load_b64 v[74:75], v86 offset:8448
	;; [unrolled: 1-line block ×3, first 2 shown]
	s_and_saveexec_b32 s1, s0
	s_cbranch_execz .LBB0_17
; %bb.16:
	ds_load_b64 v[72:73], v86 offset:4752
	ds_load_b64 v[68:69], v86 offset:10032
	;; [unrolled: 1-line block ×3, first 2 shown]
.LBB0_17:
	s_wait_alu 0xfffe
	s_or_b32 exec_lo, exec_lo, s1
	v_mul_f64_e32 v[18:19], v[54:55], v[18:19]
	v_mul_f64_e32 v[22:23], v[48:49], v[22:23]
	v_mul_f64_e32 v[26:27], v[50:51], v[26:27]
	v_mul_f64_e32 v[30:31], v[44:45], v[30:31]
	v_mul_f64_e32 v[34:35], v[46:47], v[34:35]
	global_wb scope:SCOPE_SE
	s_wait_dscnt 0x0
	s_barrier_signal -1
	s_barrier_wait -1
	global_inv scope:SCOPE_SE
	v_fma_f64 v[2:3], v[2:3], v[16:17], v[18:19]
	v_fma_f64 v[16:17], v[40:41], v[20:21], v[22:23]
	;; [unrolled: 1-line block ×5, first 2 shown]
	v_add_f64_e64 v[2:3], v[60:61], -v[2:3]
	v_add_f64_e64 v[16:17], v[62:63], -v[16:17]
	;; [unrolled: 1-line block ×5, first 2 shown]
	v_fma_f64 v[22:23], v[60:61], 2.0, -v[2:3]
	v_fma_f64 v[24:25], v[62:63], 2.0, -v[16:17]
	;; [unrolled: 1-line block ×5, first 2 shown]
	ds_store_2addr_b64 v97, v[22:23], v[2:3] offset1:11
	ds_store_2addr_b64 v93, v[24:25], v[16:17] offset1:11
	ds_store_2addr_b64 v94, v[28:29], v[18:19] offset1:11
	ds_store_2addr_b64 v95, v[30:31], v[20:21] offset1:11
	ds_store_2addr_b64 v96, v[0:1], v[26:27] offset1:11
	global_wb scope:SCOPE_SE
	s_wait_dscnt 0x0
	s_barrier_signal -1
	s_barrier_wait -1
	global_inv scope:SCOPE_SE
	ds_load_2addr_b64 v[0:3], v86 offset1:198
	ds_load_2addr_b64 v[16:19], v88 offset0:20 offset1:218
	ds_load_2addr_b64 v[20:23], v89 offset0:40 offset1:238
	ds_load_b64 v[32:33], v86 offset:3168
	ds_load_b64 v[30:31], v86 offset:8448
	;; [unrolled: 1-line block ×3, first 2 shown]
                                        ; implicit-def: $vgpr24_vgpr25
	s_and_saveexec_b32 s1, s0
	s_cbranch_execz .LBB0_19
; %bb.18:
	ds_load_b64 v[26:27], v86 offset:4752
	ds_load_b64 v[70:71], v86 offset:10032
	;; [unrolled: 1-line block ×3, first 2 shown]
.LBB0_19:
	s_wait_alu 0xfffe
	s_or_b32 exec_lo, exec_lo, s1
	v_lshrrev_b16 v34, 1, v64
	v_lshrrev_b32_e32 v114, 20, v92
	v_lshrrev_b32_e32 v116, 20, v91
	v_lshrrev_b32_e32 v117, 20, v90
	s_mov_b32 s2, 0xe8584caa
	v_and_b32_e32 v34, 0x7f, v34
	s_mov_b32 s3, 0x3febb67a
	v_mul_lo_u16 v36, v116, 22
	v_mul_lo_u16 v37, v117, 22
	s_mov_b32 s7, 0xbfebb67a
	v_mul_lo_u16 v34, 0xbb, v34
	s_wait_alu 0xfffe
	s_mov_b32 s6, s2
	v_sub_nc_u16 v36, v80, v36
	s_delay_alu instid0(VALU_DEP_2) | instskip(SKIP_1) | instid1(VALU_DEP_3)
	v_lshrrev_b16 v115, 11, v34
	v_mul_lo_u16 v34, v114, 22
	v_and_b32_e32 v120, 0xffff, v36
	s_delay_alu instid0(VALU_DEP_3) | instskip(NEXT) | instid1(VALU_DEP_3)
	v_mul_lo_u16 v35, v115, 22
	v_sub_nc_u16 v34, v83, v34
	s_delay_alu instid0(VALU_DEP_3) | instskip(NEXT) | instid1(VALU_DEP_3)
	v_lshlrev_b32_e32 v43, 5, v120
	v_sub_nc_u16 v35, v64, v35
	s_delay_alu instid0(VALU_DEP_3) | instskip(SKIP_1) | instid1(VALU_DEP_3)
	v_and_b32_e32 v118, 0xffff, v34
	v_sub_nc_u16 v34, v81, v37
	v_and_b32_e32 v119, 0xff, v35
	s_delay_alu instid0(VALU_DEP_3) | instskip(NEXT) | instid1(VALU_DEP_3)
	v_lshlrev_b32_e32 v38, 5, v118
	v_and_b32_e32 v121, 0xffff, v34
	s_clause 0x1
	global_load_b128 v[34:37], v38, s[4:5] offset:192
	global_load_b128 v[38:41], v38, s[4:5] offset:176
	v_lshlrev_b32_e32 v42, 5, v119
	v_lshlrev_b32_e32 v44, 5, v121
	s_clause 0x5
	global_load_b128 v[60:63], v42, s[4:5] offset:176
	global_load_b128 v[88:91], v42, s[4:5] offset:192
	;; [unrolled: 1-line block ×6, first 2 shown]
	global_wb scope:SCOPE_SE
	s_wait_loadcnt_dscnt 0x0
	s_barrier_signal -1
	s_barrier_wait -1
	global_inv scope:SCOPE_SE
	v_mul_f64_e32 v[44:45], v[22:23], v[36:37]
	v_mul_f64_e32 v[42:43], v[18:19], v[40:41]
	;; [unrolled: 1-line block ×15, first 2 shown]
	v_fma_f64 v[40:41], v[10:11], v[38:39], -v[42:43]
	v_fma_f64 v[42:43], v[14:15], v[34:35], -v[44:45]
	;; [unrolled: 1-line block ×4, first 2 shown]
	v_mul_f64_e32 v[8:9], v[78:79], v[106:107]
	v_fma_f64 v[46:47], v[74:75], v[92:93], -v[50:51]
	v_fma_f64 v[50:51], v[76:77], v[96:97], -v[58:59]
	;; [unrolled: 1-line block ×4, first 2 shown]
	v_fma_f64 v[58:59], v[18:19], v[38:39], v[112:113]
	v_fma_f64 v[18:19], v[22:23], v[34:35], v[36:37]
	;; [unrolled: 1-line block ×7, first 2 shown]
	v_add_f64_e32 v[10:11], v[40:41], v[42:43]
	v_add_f64_e32 v[36:37], v[4:5], v[54:55]
	;; [unrolled: 1-line block ×3, first 2 shown]
	v_fma_f64 v[62:63], v[24:25], v[104:105], v[8:9]
	v_add_f64_e32 v[24:25], v[6:7], v[40:41]
	v_add_f64_e32 v[14:15], v[46:47], v[50:51]
	;; [unrolled: 1-line block ×5, first 2 shown]
	v_add_f64_e64 v[28:29], v[58:59], -v[18:19]
	v_add_f64_e64 v[38:39], v[60:61], -v[16:17]
	v_fma_f64 v[6:7], v[10:11], -0.5, v[6:7]
	v_add_f64_e64 v[10:11], v[22:23], -v[20:21]
	v_fma_f64 v[4:5], v[12:13], -0.5, v[4:5]
	v_fma_f64 v[12:13], v[14:15], -0.5, v[52:53]
	v_add_f64_e64 v[14:15], v[68:69], -v[62:63]
	v_fma_f64 v[8:9], v[8:9], -0.5, v[72:73]
	v_add_f64_e32 v[73:74], v[24:25], v[42:43]
	v_add_f64_e32 v[75:76], v[30:31], v[50:51]
	;; [unrolled: 1-line block ×4, first 2 shown]
	v_mul_lo_u16 v53, 0x42, v117
	v_lshlrev_b32_e32 v52, 3, v121
	v_fma_f64 v[36:37], v[28:29], s[2:3], v[6:7]
	s_wait_alu 0xfffe
	v_fma_f64 v[6:7], v[28:29], s[6:7], v[6:7]
	v_fma_f64 v[77:78], v[38:39], s[2:3], v[4:5]
	;; [unrolled: 1-line block ×7, first 2 shown]
	v_and_b32_e32 v8, 0xffff, v115
	v_mul_u32_u24_e32 v9, 0x210, v114
	v_mul_u32_u24_e32 v12, 0x210, v116
	v_lshlrev_b32_e32 v13, 3, v118
	v_lshlrev_b32_e32 v14, 3, v120
	v_mul_u32_u24_e32 v8, 0x210, v8
	v_lshlrev_b32_e32 v15, 3, v119
	s_delay_alu instid0(VALU_DEP_4) | instskip(NEXT) | instid1(VALU_DEP_4)
	v_add3_u32 v71, 0, v9, v13
	v_add3_u32 v70, 0, v12, v14
	s_delay_alu instid0(VALU_DEP_3)
	v_add3_u32 v72, 0, v8, v15
	ds_store_2addr_b64 v72, v[34:35], v[77:78] offset1:22
	ds_store_b64 v72, v[4:5] offset:352
	ds_store_2addr_b64 v71, v[73:74], v[36:37] offset1:22
	ds_store_b64 v71, v[6:7] offset:352
	;; [unrolled: 2-line block ×3, first 2 shown]
	s_and_saveexec_b32 s1, s0
	s_cbranch_execz .LBB0_21
; %bb.20:
	v_and_b32_e32 v4, 0xffff, v53
	s_delay_alu instid0(VALU_DEP_1) | instskip(NEXT) | instid1(VALU_DEP_1)
	v_lshlrev_b32_e32 v4, 3, v4
	v_add3_u32 v4, 0, v52, v4
	ds_store_2addr_b64 v4, v[24:25], v[30:31] offset1:22
	ds_store_b64 v4, v[28:29] offset:352
.LBB0_21:
	s_wait_alu 0xfffe
	s_or_b32 exec_lo, exec_lo, s1
	v_add_nc_u32_e32 v8, 0x1400, v86
	v_add_nc_u32_e32 v12, 0x2800, v86
	global_wb scope:SCOPE_SE
	s_wait_dscnt 0x0
	s_barrier_signal -1
	s_barrier_wait -1
	global_inv scope:SCOPE_SE
	ds_load_2addr_b64 v[4:7], v86 offset1:198
	ds_load_2addr_b64 v[8:11], v8 offset0:20 offset1:218
	ds_load_2addr_b64 v[12:15], v12 offset0:40 offset1:238
	ds_load_b64 v[34:35], v86 offset:3168
	ds_load_b64 v[36:37], v86 offset:8448
	;; [unrolled: 1-line block ×3, first 2 shown]
	s_and_saveexec_b32 s1, s0
	s_cbranch_execz .LBB0_23
; %bb.22:
	ds_load_b64 v[24:25], v86 offset:4752
	ds_load_b64 v[30:31], v86 offset:10032
	;; [unrolled: 1-line block ×3, first 2 shown]
.LBB0_23:
	s_wait_alu 0xfffe
	s_or_b32 exec_lo, exec_lo, s1
	v_add_f64_e32 v[73:74], v[60:61], v[16:17]
	v_add_f64_e32 v[75:76], v[58:59], v[18:19]
	;; [unrolled: 1-line block ×5, first 2 shown]
	v_add_f64_e64 v[54:55], v[54:55], -v[56:57]
	v_add_f64_e32 v[56:57], v[2:3], v[58:59]
	v_add_f64_e32 v[22:23], v[32:33], v[22:23]
	;; [unrolled: 1-line block ×3, first 2 shown]
	v_add_f64_e64 v[40:41], v[40:41], -v[42:43]
	v_add_f64_e64 v[42:43], v[46:47], -v[50:51]
	;; [unrolled: 1-line block ×3, first 2 shown]
	s_mov_b32 s2, 0xe8584caa
	s_mov_b32 s3, 0xbfebb67a
	;; [unrolled: 1-line block ×3, first 2 shown]
	s_wait_alu 0xfffe
	s_mov_b32 s6, s2
	global_wb scope:SCOPE_SE
	s_wait_dscnt 0x0
	s_barrier_signal -1
	s_barrier_wait -1
	global_inv scope:SCOPE_SE
	v_fma_f64 v[0:1], v[73:74], -0.5, v[0:1]
	v_fma_f64 v[2:3], v[75:76], -0.5, v[2:3]
	;; [unrolled: 1-line block ×4, first 2 shown]
	v_add_f64_e32 v[16:17], v[60:61], v[16:17]
	v_add_f64_e32 v[18:19], v[56:57], v[18:19]
	;; [unrolled: 1-line block ×4, first 2 shown]
	v_fma_f64 v[22:23], v[54:55], s[2:3], v[0:1]
	v_fma_f64 v[48:49], v[40:41], s[2:3], v[2:3]
	s_wait_alu 0xfffe
	v_fma_f64 v[2:3], v[40:41], s[6:7], v[2:3]
	v_fma_f64 v[50:51], v[42:43], s[2:3], v[32:33]
	;; [unrolled: 1-line block ×6, first 2 shown]
	ds_store_2addr_b64 v72, v[16:17], v[22:23] offset1:22
	ds_store_b64 v72, v[0:1] offset:352
	ds_store_2addr_b64 v71, v[18:19], v[48:49] offset1:22
	ds_store_b64 v71, v[2:3] offset:352
	ds_store_2addr_b64 v70, v[20:21], v[50:51] offset1:22
	ds_store_b64 v70, v[32:33] offset:352
	s_and_saveexec_b32 s1, s0
	s_cbranch_execz .LBB0_25
; %bb.24:
	v_and_b32_e32 v0, 0xffff, v53
	s_delay_alu instid0(VALU_DEP_1) | instskip(NEXT) | instid1(VALU_DEP_1)
	v_lshlrev_b32_e32 v0, 3, v0
	v_add3_u32 v0, 0, v52, v0
	ds_store_2addr_b64 v0, v[26:27], v[42:43] offset1:22
	ds_store_b64 v0, v[40:41] offset:352
.LBB0_25:
	s_wait_alu 0xfffe
	s_or_b32 exec_lo, exec_lo, s1
	v_add_nc_u32_e32 v16, 0x1400, v86
	v_add_nc_u32_e32 v20, 0x2800, v86
	global_wb scope:SCOPE_SE
	s_wait_dscnt 0x0
	s_barrier_signal -1
	s_barrier_wait -1
	global_inv scope:SCOPE_SE
	ds_load_2addr_b64 v[0:3], v86 offset1:198
	ds_load_2addr_b64 v[16:19], v16 offset0:20 offset1:218
	ds_load_2addr_b64 v[20:23], v20 offset0:40 offset1:238
	ds_load_b64 v[32:33], v86 offset:3168
	ds_load_b64 v[46:47], v86 offset:8448
	;; [unrolled: 1-line block ×3, first 2 shown]
	s_and_saveexec_b32 s1, s0
	s_cbranch_execz .LBB0_27
; %bb.26:
	ds_load_b64 v[26:27], v86 offset:4752
	ds_load_b64 v[42:43], v86 offset:10032
	;; [unrolled: 1-line block ×3, first 2 shown]
.LBB0_27:
	s_wait_alu 0xfffe
	s_or_b32 exec_lo, exec_lo, s1
	v_mul_lo_u16 v48, 0xf9, v87
	v_mul_u32_u24_e32 v49, 0xf83f, v85
	v_mul_u32_u24_e32 v50, 0xf83f, v84
	s_mov_b32 s2, 0xe8584caa
	s_mov_b32 s3, 0x3febb67a
	v_lshrrev_b16 v103, 14, v48
	v_lshrrev_b32_e32 v104, 22, v49
	v_lshrrev_b32_e32 v105, 22, v50
	s_mov_b32 s7, 0xbfebb67a
	s_wait_alu 0xfffe
	s_mov_b32 s6, s2
	v_mul_lo_u16 v48, 0x42, v103
	v_mul_lo_u16 v49, 0x42, v104
	;; [unrolled: 1-line block ×3, first 2 shown]
	s_delay_alu instid0(VALU_DEP_3) | instskip(NEXT) | instid1(VALU_DEP_3)
	v_sub_nc_u16 v48, v64, v48
	v_sub_nc_u16 v49, v83, v49
	s_delay_alu instid0(VALU_DEP_3) | instskip(NEXT) | instid1(VALU_DEP_3)
	v_sub_nc_u16 v50, v80, v50
	v_and_b32_e32 v106, 0xff, v48
	s_delay_alu instid0(VALU_DEP_3) | instskip(NEXT) | instid1(VALU_DEP_3)
	v_and_b32_e32 v107, 0xffff, v49
	v_and_b32_e32 v108, 0xffff, v50
	s_delay_alu instid0(VALU_DEP_3) | instskip(NEXT) | instid1(VALU_DEP_3)
	v_lshlrev_b32_e32 v48, 5, v106
	v_lshlrev_b32_e32 v49, 5, v107
	s_delay_alu instid0(VALU_DEP_3)
	v_lshlrev_b32_e32 v50, 5, v108
	s_clause 0x5
	global_load_b128 v[54:57], v48, s[4:5] offset:880
	global_load_b128 v[58:61], v48, s[4:5] offset:896
	;; [unrolled: 1-line block ×6, first 2 shown]
	v_mul_u32_u24_e32 v48, 0xf83f, v65
	s_delay_alu instid0(VALU_DEP_1) | instskip(NEXT) | instid1(VALU_DEP_1)
	v_lshrrev_b32_e32 v48, 22, v48
	v_mul_lo_u16 v48, 0x42, v48
	s_delay_alu instid0(VALU_DEP_1) | instskip(NEXT) | instid1(VALU_DEP_1)
	v_sub_nc_u16 v48, v81, v48
	v_and_b32_e32 v65, 0xffff, v48
	s_delay_alu instid0(VALU_DEP_1)
	v_lshlrev_b32_e32 v48, 5, v65
	s_clause 0x1
	global_load_b128 v[91:94], v48, s[4:5] offset:880
	global_load_b128 v[95:98], v48, s[4:5] offset:896
	global_wb scope:SCOPE_SE
	s_wait_loadcnt_dscnt 0x0
	s_barrier_signal -1
	s_barrier_wait -1
	global_inv scope:SCOPE_SE
	v_mul_f64_e32 v[48:49], v[16:17], v[56:57]
	v_mul_f64_e32 v[52:53], v[20:21], v[60:61]
	;; [unrolled: 1-line block ×12, first 2 shown]
	v_fma_f64 v[50:51], v[8:9], v[54:55], -v[48:49]
	v_fma_f64 v[52:53], v[12:13], v[58:59], -v[52:53]
	;; [unrolled: 1-line block ×6, first 2 shown]
	v_fma_f64 v[36:37], v[16:17], v[54:55], v[56:57]
	v_fma_f64 v[10:11], v[20:21], v[58:59], v[60:61]
	;; [unrolled: 1-line block ×6, first 2 shown]
	v_mul_f64_e32 v[54:55], v[42:43], v[93:94]
	v_mul_f64_e32 v[56:57], v[30:31], v[93:94]
	;; [unrolled: 1-line block ×3, first 2 shown]
	v_add_f64_e32 v[60:61], v[4:5], v[50:51]
	v_add_f64_e32 v[20:21], v[50:51], v[52:53]
	;; [unrolled: 1-line block ×6, first 2 shown]
	v_add_f64_e64 v[62:63], v[36:37], -v[10:11]
	v_add_f64_e64 v[72:73], v[18:19], -v[16:17]
	;; [unrolled: 1-line block ×3, first 2 shown]
	v_fma_f64 v[4:5], v[20:21], -0.5, v[4:5]
	v_fma_f64 v[20:21], v[42:43], v[91:92], v[56:57]
	v_fma_f64 v[6:7], v[22:23], -0.5, v[6:7]
	v_fma_f64 v[22:23], v[30:31], v[91:92], -v[54:55]
	v_fma_f64 v[34:35], v[46:47], -0.5, v[34:35]
	v_mul_f64_e32 v[46:47], v[28:29], v[97:98]
	v_fma_f64 v[28:29], v[28:29], v[95:96], -v[58:59]
	v_add_f64_e32 v[42:43], v[60:61], v[52:53]
	v_add_f64_e32 v[54:55], v[68:69], v[48:49]
	v_add_f64_e32 v[56:57], v[70:71], v[14:15]
	v_lshlrev_b32_e32 v70, 3, v108
	v_fma_f64 v[58:59], v[62:63], s[2:3], v[4:5]
	s_wait_alu 0xfffe
	v_fma_f64 v[4:5], v[62:63], s[6:7], v[4:5]
	v_fma_f64 v[60:61], v[72:73], s[2:3], v[6:7]
	;; [unrolled: 1-line block ×6, first 2 shown]
	v_and_b32_e32 v34, 0xffff, v103
	v_mul_u32_u24_e32 v40, 0x630, v104
	v_mul_u32_u24_e32 v41, 0x630, v105
	v_lshlrev_b32_e32 v46, 3, v106
	v_lshlrev_b32_e32 v47, 3, v107
	v_mul_u32_u24_e32 v35, 0x630, v34
	v_lshl_add_u32 v34, v65, 3, 0
	v_add3_u32 v41, 0, v41, v70
	s_delay_alu instid0(VALU_DEP_4) | instskip(NEXT) | instid1(VALU_DEP_4)
	v_add3_u32 v40, 0, v40, v47
	v_add3_u32 v35, 0, v35, v46
	ds_store_2addr_b64 v35, v[42:43], v[58:59] offset1:66
	ds_store_b64 v35, v[4:5] offset:1056
	ds_store_2addr_b64 v40, v[54:55], v[60:61] offset1:66
	ds_store_b64 v40, v[6:7] offset:1056
	;; [unrolled: 2-line block ×3, first 2 shown]
	s_and_saveexec_b32 s1, s0
	s_cbranch_execz .LBB0_29
; %bb.28:
	v_add_f64_e32 v[4:5], v[22:23], v[28:29]
	v_add_f64_e64 v[6:7], v[20:21], -v[30:31]
	v_add_f64_e32 v[42:43], v[24:25], v[22:23]
	s_delay_alu instid0(VALU_DEP_3) | instskip(NEXT) | instid1(VALU_DEP_2)
	v_fma_f64 v[4:5], v[4:5], -0.5, v[24:25]
	v_add_f64_e32 v[24:25], v[42:43], v[28:29]
	s_delay_alu instid0(VALU_DEP_2)
	v_fma_f64 v[42:43], v[6:7], s[2:3], v[4:5]
	v_fma_f64 v[4:5], v[6:7], s[6:7], v[4:5]
	v_add_nc_u32_e32 v6, 0x3400, v34
	ds_store_2addr_b64 v6, v[24:25], v[42:43] offset0:118 offset1:184
	ds_store_b64 v34, v[4:5] offset:15312
.LBB0_29:
	s_wait_alu 0xfffe
	s_or_b32 exec_lo, exec_lo, s1
	v_add_f64_e32 v[4:5], v[36:37], v[10:11]
	v_add_f64_e32 v[6:7], v[18:19], v[16:17]
	;; [unrolled: 1-line block ×4, first 2 shown]
	v_add_f64_e64 v[42:43], v[50:51], -v[52:53]
	v_add_f64_e32 v[38:39], v[32:33], v[38:39]
	v_add_f64_e32 v[18:19], v[2:3], v[18:19]
	global_wb scope:SCOPE_SE
	s_wait_dscnt 0x0
	s_barrier_signal -1
	s_barrier_wait -1
	global_inv scope:SCOPE_SE
	v_fma_f64 v[0:1], v[4:5], -0.5, v[0:1]
	v_add_f64_e64 v[4:5], v[12:13], -v[48:49]
	v_fma_f64 v[2:3], v[6:7], -0.5, v[2:3]
	v_add_f64_e64 v[6:7], v[8:9], -v[14:15]
	v_fma_f64 v[8:9], v[24:25], -0.5, v[32:33]
	v_add_f64_e32 v[36:37], v[36:37], v[10:11]
	v_add_f64_e32 v[38:39], v[38:39], v[44:45]
	;; [unrolled: 1-line block ×3, first 2 shown]
	v_add_nc_u32_e32 v24, 0xc00, v86
	v_add_nc_u32_e32 v25, 0x1800, v86
	;; [unrolled: 1-line block ×4, first 2 shown]
	v_fma_f64 v[44:45], v[42:43], s[6:7], v[0:1]
	v_fma_f64 v[42:43], v[42:43], s[2:3], v[0:1]
	;; [unrolled: 1-line block ×6, first 2 shown]
	ds_load_2addr_b64 v[0:3], v86 offset1:198
	ds_load_2addr_b64 v[4:7], v24 offset0:12 offset1:210
	ds_load_2addr_b64 v[12:15], v25 offset0:24 offset1:222
	;; [unrolled: 1-line block ×4, first 2 shown]
	global_wb scope:SCOPE_SE
	s_wait_dscnt 0x0
	s_barrier_signal -1
	s_barrier_wait -1
	global_inv scope:SCOPE_SE
	ds_store_2addr_b64 v35, v[36:37], v[44:45] offset1:66
	ds_store_b64 v35, v[42:43] offset:1056
	ds_store_2addr_b64 v40, v[46:47], v[48:49] offset1:66
	ds_store_b64 v40, v[50:51] offset:1056
	;; [unrolled: 2-line block ×3, first 2 shown]
	s_and_saveexec_b32 s1, s0
	s_cbranch_execz .LBB0_31
; %bb.30:
	v_add_f64_e32 v[35:36], v[20:21], v[30:31]
	v_add_f64_e64 v[22:23], v[22:23], -v[28:29]
	v_add_f64_e32 v[20:21], v[26:27], v[20:21]
	s_mov_b32 s3, 0xbfebb67a
	s_mov_b32 s2, 0xe8584caa
	s_delay_alu instid0(VALU_DEP_3) | instskip(NEXT) | instid1(VALU_DEP_2)
	v_fma_f64 v[28:29], v[35:36], -0.5, v[26:27]
	v_add_f64_e32 v[20:21], v[20:21], v[30:31]
	s_wait_alu 0xfffe
	s_delay_alu instid0(VALU_DEP_2)
	v_fma_f64 v[26:27], v[22:23], s[2:3], v[28:29]
	s_mov_b32 s3, 0x3febb67a
	s_wait_alu 0xfffe
	v_fma_f64 v[22:23], v[22:23], s[2:3], v[28:29]
	v_add_nc_u32_e32 v28, 0x3400, v34
	ds_store_2addr_b64 v28, v[20:21], v[26:27] offset0:118 offset1:184
	ds_store_b64 v34, v[22:23] offset:15312
.LBB0_31:
	s_wait_alu 0xfffe
	s_or_b32 exec_lo, exec_lo, s1
	v_dual_mov_b32 v21, 0 :: v_dual_lshlrev_b32 v20, 2, v64
	global_wb scope:SCOPE_SE
	s_wait_dscnt 0x0
	s_barrier_signal -1
	s_barrier_wait -1
	global_inv scope:SCOPE_SE
	v_lshlrev_b64_e32 v[22:23], 4, v[20:21]
	s_mov_b32 s3, 0xbfee6f0e
	s_mov_b32 s6, 0x4755a5e
	s_mov_b32 s7, 0x3fe2cf23
	s_mov_b32 s13, 0xbfe2cf23
	s_wait_alu 0xfffe
	s_mov_b32 s12, s6
	v_add_co_u32 v22, s0, s4, v22
	s_wait_alu 0xf1ff
	v_add_co_ci_u32_e64 v23, s0, s5, v23, s0
	s_mov_b32 s0, 0x134454ff
	s_mov_b32 s1, 0x3fee6f0e
	s_clause 0x3
	global_load_b128 v[26:29], v[22:23], off offset:3008
	global_load_b128 v[34:37], v[22:23], off offset:3024
	;; [unrolled: 1-line block ×4, first 2 shown]
	ds_load_2addr_b64 v[46:49], v25 offset0:24 offset1:222
	ds_load_2addr_b64 v[50:53], v32 offset0:36 offset1:234
	;; [unrolled: 1-line block ×4, first 2 shown]
	s_wait_alu 0xfffe
	s_mov_b32 s2, s0
	s_wait_loadcnt_dscnt 0x303
	v_mul_f64_e32 v[22:23], v[46:47], v[28:29]
	s_wait_loadcnt_dscnt 0x202
	v_mul_f64_e32 v[30:31], v[50:51], v[36:37]
	;; [unrolled: 2-line block ×4, first 2 shown]
	v_mul_f64_e32 v[70:71], v[48:49], v[28:29]
	v_mul_f64_e32 v[72:73], v[52:53], v[36:37]
	;; [unrolled: 1-line block ×12, first 2 shown]
	v_fma_f64 v[12:13], v[12:13], v[26:27], -v[22:23]
	v_fma_f64 v[16:17], v[16:17], v[34:35], -v[30:31]
	;; [unrolled: 1-line block ×8, first 2 shown]
	v_fma_f64 v[46:47], v[46:47], v[26:27], v[78:79]
	v_fma_f64 v[50:51], v[50:51], v[34:35], v[84:85]
	;; [unrolled: 1-line block ×8, first 2 shown]
	ds_load_2addr_b64 v[4:7], v86 offset1:198
	global_wb scope:SCOPE_SE
	s_wait_dscnt 0x0
	s_barrier_signal -1
	s_barrier_wait -1
	global_inv scope:SCOPE_SE
	v_add_f64_e32 v[38:39], v[12:13], v[16:17]
	v_add_f64_e32 v[62:63], v[0:1], v[22:23]
	;; [unrolled: 1-line block ×3, first 2 shown]
	v_add_f64_e64 v[78:79], v[12:13], -v[22:23]
	v_add_f64_e32 v[42:43], v[14:15], v[18:19]
	v_add_f64_e32 v[70:71], v[2:3], v[30:31]
	;; [unrolled: 1-line block ×3, first 2 shown]
	v_add_f64_e64 v[89:90], v[12:13], -v[16:17]
	v_add_f64_e32 v[48:49], v[46:47], v[50:51]
	v_add_f64_e64 v[72:73], v[46:47], -v[50:51]
	v_add_f64_e32 v[52:53], v[54:55], v[58:59]
	;; [unrolled: 2-line block ×4, first 2 shown]
	v_add_f64_e32 v[84:85], v[4:5], v[54:55]
	v_add_f64_e32 v[87:88], v[6:7], v[34:35]
	v_add_f64_e64 v[91:92], v[14:15], -v[18:19]
	v_add_f64_e64 v[76:77], v[8:9], -v[16:17]
	;; [unrolled: 1-line block ×12, first 2 shown]
	v_fma_f64 v[38:39], v[38:39], -0.5, v[0:1]
	v_fma_f64 v[0:1], v[40:41], -0.5, v[0:1]
	v_add_f64_e64 v[40:41], v[34:35], -v[36:37]
	v_fma_f64 v[42:43], v[42:43], -0.5, v[2:3]
	v_add_f64_e64 v[34:35], v[26:27], -v[34:35]
	;; [unrolled: 2-line block ×3, first 2 shown]
	v_add_f64_e64 v[22:23], v[22:23], -v[8:9]
	v_fma_f64 v[48:49], v[48:49], -0.5, v[4:5]
	v_fma_f64 v[4:5], v[52:53], -0.5, v[4:5]
	v_add_f64_e64 v[52:53], v[30:31], -v[10:11]
	v_fma_f64 v[56:57], v[56:57], -0.5, v[6:7]
	v_add_f64_e32 v[12:13], v[62:63], v[12:13]
	v_fma_f64 v[6:7], v[60:61], -0.5, v[6:7]
	v_add_f64_e64 v[60:61], v[16:17], -v[8:9]
	v_add_f64_e64 v[30:31], v[14:15], -v[30:31]
	v_add_f64_e32 v[14:15], v[70:71], v[14:15]
	v_add_f64_e32 v[46:47], v[84:85], v[46:47]
	;; [unrolled: 1-line block ×4, first 2 shown]
	v_fma_f64 v[62:63], v[68:69], s[0:1], v[38:39]
	s_wait_alu 0xfffe
	v_fma_f64 v[38:39], v[68:69], s[2:3], v[38:39]
	v_fma_f64 v[70:71], v[72:73], s[2:3], v[0:1]
	;; [unrolled: 1-line block ×7, first 2 shown]
	v_add_f64_e32 v[44:45], v[44:45], v[76:77]
	v_fma_f64 v[84:85], v[22:23], s[2:3], v[48:49]
	v_fma_f64 v[48:49], v[22:23], s[0:1], v[48:49]
	;; [unrolled: 1-line block ×8, first 2 shown]
	v_add_f64_e32 v[12:13], v[12:13], v[16:17]
	v_add_f64_e32 v[60:61], v[78:79], v[60:61]
	;; [unrolled: 1-line block ×8, first 2 shown]
	s_mov_b32 s0, 0x372fe950
	s_mov_b32 s1, 0x3fd3c6ef
	v_fma_f64 v[16:17], v[72:73], s[6:7], v[62:63]
	v_fma_f64 v[18:19], v[72:73], s[12:13], v[38:39]
	;; [unrolled: 1-line block ×8, first 2 shown]
	v_add_f64_e32 v[40:41], v[103:104], v[105:106]
	v_fma_f64 v[28:29], v[89:90], s[12:13], v[84:85]
	v_fma_f64 v[48:49], v[89:90], s[6:7], v[48:49]
	v_fma_f64 v[50:51], v[22:23], s[12:13], v[87:88]
	v_fma_f64 v[4:5], v[22:23], s[6:7], v[4:5]
	v_add_f64_e32 v[70:71], v[109:110], v[111:112]
	v_fma_f64 v[22:23], v[91:92], s[12:13], v[115:116]
	v_fma_f64 v[72:73], v[52:53], s[12:13], v[117:118]
	;; [unrolled: 1-line block ×4, first 2 shown]
	v_add_f64_e32 v[8:9], v[12:13], v[8:9]
	v_add_f64_e32 v[10:11], v[14:15], v[10:11]
	;; [unrolled: 1-line block ×3, first 2 shown]
	s_wait_alu 0xfffe
	v_fma_f64 v[12:13], v[44:45], s[0:1], v[16:17]
	v_fma_f64 v[14:15], v[44:45], s[0:1], v[18:19]
	;; [unrolled: 1-line block ×8, first 2 shown]
	v_add_f64_e32 v[30:31], v[46:47], v[58:59]
	v_fma_f64 v[28:29], v[40:41], s[0:1], v[28:29]
	v_fma_f64 v[36:37], v[40:41], s[0:1], v[48:49]
	;; [unrolled: 1-line block ×4, first 2 shown]
	ds_store_2addr_b64 v86, v[8:9], v[12:13] offset1:198
	ds_store_2addr_b64 v24, v[16:17], v[0:1] offset0:12 offset1:210
	ds_store_2addr_b64 v25, v[14:15], v[10:11] offset0:24 offset1:222
	;; [unrolled: 1-line block ×4, first 2 shown]
	v_fma_f64 v[22:23], v[70:71], s[0:1], v[22:23]
	v_fma_f64 v[48:49], v[34:35], s[0:1], v[72:73]
	;; [unrolled: 1-line block ×4, first 2 shown]
	global_wb scope:SCOPE_SE
	s_wait_dscnt 0x0
	s_barrier_signal -1
	s_barrier_wait -1
	global_inv scope:SCOPE_SE
	ds_load_2addr_b64 v[8:11], v86 offset1:198
	ds_load_2addr_b64 v[0:3], v25 offset0:24 offset1:222
	ds_load_2addr_b64 v[12:15], v32 offset0:36 offset1:234
	;; [unrolled: 1-line block ×4, first 2 shown]
	global_wb scope:SCOPE_SE
	s_wait_dscnt 0x0
	s_barrier_signal -1
	s_barrier_wait -1
	global_inv scope:SCOPE_SE
	ds_store_2addr_b64 v86, v[30:31], v[28:29] offset1:198
	ds_store_2addr_b64 v24, v[40:41], v[44:45] offset0:12 offset1:210
	ds_store_2addr_b64 v25, v[36:37], v[26:27] offset0:24 offset1:222
	;; [unrolled: 1-line block ×4, first 2 shown]
	global_wb scope:SCOPE_SE
	s_wait_dscnt 0x0
	s_barrier_signal -1
	s_barrier_wait -1
	global_inv scope:SCOPE_SE
	s_and_saveexec_b32 s0, vcc_lo
	s_cbranch_execz .LBB0_33
; %bb.32:
	v_dual_mov_b32 v65, v21 :: v_dual_add_nc_u32 v40, 0x3000, v86
	v_add_nc_u32_e32 v88, 0x4a4, v64
	v_mad_co_u64_u32 v[60:61], null, s8, v64, 0
	s_delay_alu instid0(VALU_DEP_3)
	v_lshlrev_b64_e32 v[20:21], 4, v[64:65]
	v_mad_co_u64_u32 v[62:63], null, s8, v83, 0
	v_mul_hi_u32 v84, 0x21195767, v80
	v_mul_hi_u32 v85, 0x21195767, v81
	v_mad_co_u64_u32 v[77:78], null, s8, v88, 0
	v_add_co_u32 v36, vcc_lo, s4, v20
	s_wait_alu 0xfffd
	v_add_co_ci_u32_e32 v37, vcc_lo, s5, v21, vcc_lo
	v_add_nc_u32_e32 v79, 0x3de, v64
	v_lshrrev_b32_e32 v90, 7, v84
	s_clause 0x4
	global_load_b128 v[20:23], v[36:37], off offset:28336
	global_load_b128 v[24:27], v[36:37], off offset:15664
	;; [unrolled: 1-line block ×5, first 2 shown]
	v_lshrrev_b32_e32 v91, 7, v85
	v_mad_co_u64_u32 v[84:85], null, s9, v64, v[61:62]
	v_mad_co_u64_u32 v[63:64], null, s9, v83, v[63:64]
	v_mov_b32_e32 v64, v78
	v_mad_co_u64_u32 v[75:76], null, s8, v79, 0
	v_add_nc_u32_e32 v44, 0x1800, v86
	v_add_nc_u32_e32 v52, 0x2400, v86
	ds_load_2addr_b64 v[40:43], v40 offset0:48 offset1:246
	v_mul_hi_u32 v89, 0x21195767, v82
	v_mad_u32_u24 v85, 0x3de, v90, v80
	v_mad_u32_u24 v90, 0x3de, v91, v81
	v_mov_b32_e32 v61, v76
	s_delay_alu instid0(VALU_DEP_1)
	v_mad_co_u64_u32 v[78:79], null, s9, v79, v[61:62]
	v_mov_b32_e32 v61, v84
	ds_load_2addr_b64 v[44:47], v44 offset0:24 offset1:222
	ds_load_2addr_b64 v[48:51], v86 offset1:198
	ds_load_2addr_b64 v[52:55], v52 offset0:36 offset1:234
	v_lshrrev_b32_e32 v89, 7, v89
	v_dual_mov_b32 v76, v78 :: v_dual_add_nc_u32 v91, 0x3de, v90
	s_delay_alu instid0(VALU_DEP_2)
	v_mad_u32_u24 v89, 0x3de, v89, v82
	v_mad_co_u64_u32 v[82:83], null, s8, v90, 0
	v_add_nc_u32_e32 v56, 0xc00, v86
	v_add_co_u32 v86, vcc_lo, s10, v66
	s_wait_alu 0xfffd
	v_add_co_ci_u32_e32 v87, vcc_lo, s11, v67, vcc_lo
	s_wait_loadcnt 0x4
	v_mul_f64_e32 v[65:66], v[18:19], v[22:23]
	s_wait_dscnt 0x3
	v_mul_f64_e32 v[22:23], v[42:43], v[22:23]
	s_wait_loadcnt 0x3
	v_mul_f64_e32 v[67:68], v[2:3], v[26:27]
	s_wait_dscnt 0x2
	v_mul_f64_e32 v[26:27], v[46:47], v[26:27]
	s_wait_loadcnt 0x2
	v_mul_f64_e32 v[69:70], v[12:13], v[30:31]
	s_wait_dscnt 0x0
	v_mul_f64_e32 v[30:31], v[52:53], v[30:31]
	s_wait_loadcnt 0x1
	v_mul_f64_e32 v[71:72], v[14:15], v[34:35]
	v_mul_f64_e32 v[34:35], v[54:55], v[34:35]
	s_wait_loadcnt 0x0
	v_mul_f64_e32 v[73:74], v[16:17], v[38:39]
	v_mul_f64_e32 v[38:39], v[40:41], v[38:39]
	v_mad_co_u64_u32 v[79:80], null, s9, v88, v[64:65]
	v_fma_f64 v[42:43], v[42:43], v[20:21], v[65:66]
	v_fma_f64 v[64:65], v[18:19], v[20:21], -v[22:23]
	v_fma_f64 v[18:19], v[46:47], v[24:25], v[67:68]
	v_fma_f64 v[2:3], v[2:3], v[24:25], -v[26:27]
	;; [unrolled: 2-line block ×4, first 2 shown]
	v_mov_b32_e32 v15, v83
	v_fma_f64 v[30:31], v[40:41], v[36:37], v[73:74]
	v_fma_f64 v[32:33], v[16:17], v[36:37], -v[38:39]
	ds_load_2addr_b64 v[56:59], v56 offset0:12 offset1:210
	v_mad_co_u64_u32 v[80:81], null, s8, v85, 0
	v_mad_co_u64_u32 v[46:47], null, s8, v89, 0
	v_lshlrev_b64_e32 v[34:35], 4, v[60:61]
	v_lshlrev_b64_e32 v[36:37], 4, v[62:63]
	v_mad_co_u64_u32 v[54:55], null, s8, v91, 0
	v_mov_b32_e32 v14, v81
	v_add_nc_u32_e32 v88, 0x3de, v85
	v_mov_b32_e32 v16, v47
	v_add_nc_u32_e32 v70, 0x3de, v89
	v_lshlrev_b64_e32 v[38:39], 4, v[75:76]
	v_mad_co_u64_u32 v[60:61], null, s9, v85, v[14:15]
	s_delay_alu instid0(VALU_DEP_4)
	v_mad_co_u64_u32 v[61:62], null, s9, v90, v[15:16]
	v_mad_co_u64_u32 v[62:63], null, s9, v89, v[16:17]
	;; [unrolled: 1-line block ×4, first 2 shown]
	v_add_co_u32 v63, vcc_lo, v86, v34
	v_dual_mov_b32 v78, v79 :: v_dual_mov_b32 v81, v60
	v_add_f64_e64 v[14:15], v[44:45], -v[42:43]
	v_add_f64_e64 v[18:19], v[48:49], -v[18:19]
	;; [unrolled: 1-line block ×5, first 2 shown]
	s_wait_dscnt 0x0
	v_add_f64_e64 v[26:27], v[56:57], -v[24:25]
	v_add_f64_e64 v[24:25], v[4:5], -v[28:29]
	;; [unrolled: 1-line block ×5, first 2 shown]
	v_mov_b32_e32 v47, v53
	v_mov_b32_e32 v53, v55
	;; [unrolled: 1-line block ×3, first 2 shown]
	s_wait_alu 0xfffd
	v_add_co_ci_u32_e32 v64, vcc_lo, v87, v35, vcc_lo
	v_add_co_u32 v68, vcc_lo, v86, v36
	v_mad_co_u64_u32 v[32:33], null, s9, v91, v[53:54]
	v_mad_co_u64_u32 v[33:34], null, s9, v70, v[55:56]
	;; [unrolled: 1-line block ×3, first 2 shown]
	s_wait_alu 0xfffd
	v_add_co_ci_u32_e32 v69, vcc_lo, v87, v37, vcc_lo
	v_lshlrev_b64_e32 v[40:41], 4, v[77:78]
	v_add_co_u32 v70, vcc_lo, v86, v38
	v_mov_b32_e32 v55, v32
	v_mov_b32_e32 v67, v33
	s_wait_alu 0xfffd
	v_add_co_ci_u32_e32 v71, vcc_lo, v87, v39, vcc_lo
	v_add_co_u32 v72, vcc_lo, v86, v40
	v_mov_b32_e32 v53, v2
	s_wait_alu 0xfffd
	v_add_co_ci_u32_e32 v73, vcc_lo, v87, v41, vcc_lo
	v_mov_b32_e32 v83, v61
	v_fma_f64 v[42:43], v[44:45], 2.0, -v[14:15]
	v_fma_f64 v[34:35], v[48:49], 2.0, -v[18:19]
	;; [unrolled: 1-line block ×10, first 2 shown]
	v_lshlrev_b64_e32 v[60:61], 4, v[80:81]
	v_mov_b32_e32 v47, v62
	v_lshlrev_b64_e32 v[0:1], 4, v[82:83]
	v_lshlrev_b64_e32 v[44:45], 4, v[52:53]
	;; [unrolled: 1-line block ×3, first 2 shown]
	s_delay_alu instid0(VALU_DEP_4)
	v_lshlrev_b64_e32 v[6:7], 4, v[46:47]
	v_add_co_u32 v50, vcc_lo, v86, v60
	s_wait_alu 0xfffd
	v_add_co_ci_u32_e32 v51, vcc_lo, v87, v61, vcc_lo
	v_add_co_u32 v0, vcc_lo, v86, v0
	s_wait_alu 0xfffd
	v_add_co_ci_u32_e32 v1, vcc_lo, v87, v1, vcc_lo
	v_lshlrev_b64_e32 v[46:47], 4, v[54:55]
	v_add_co_u32 v6, vcc_lo, v86, v6
	s_wait_alu 0xfffd
	v_add_co_ci_u32_e32 v7, vcc_lo, v87, v7, vcc_lo
	v_add_co_u32 v44, vcc_lo, v86, v44
	s_wait_alu 0xfffd
	v_add_co_ci_u32_e32 v45, vcc_lo, v87, v45, vcc_lo
	;; [unrolled: 3-line block ×4, first 2 shown]
	s_clause 0x9
	global_store_b128 v[63:64], v[32:35], off
	global_store_b128 v[70:71], v[16:19], off
	;; [unrolled: 1-line block ×10, first 2 shown]
.LBB0_33:
	s_nop 0
	s_sendmsg sendmsg(MSG_DEALLOC_VGPRS)
	s_endpgm
	.section	.rodata,"a",@progbits
	.p2align	6, 0x0
	.amdhsa_kernel fft_rtc_fwd_len1980_factors_11_2_3_3_5_2_wgs_198_tpt_198_halfLds_dp_ip_CI_sbrr_dirReg
		.amdhsa_group_segment_fixed_size 0
		.amdhsa_private_segment_fixed_size 0
		.amdhsa_kernarg_size 88
		.amdhsa_user_sgpr_count 2
		.amdhsa_user_sgpr_dispatch_ptr 0
		.amdhsa_user_sgpr_queue_ptr 0
		.amdhsa_user_sgpr_kernarg_segment_ptr 1
		.amdhsa_user_sgpr_dispatch_id 0
		.amdhsa_user_sgpr_private_segment_size 0
		.amdhsa_wavefront_size32 1
		.amdhsa_uses_dynamic_stack 0
		.amdhsa_enable_private_segment 0
		.amdhsa_system_sgpr_workgroup_id_x 1
		.amdhsa_system_sgpr_workgroup_id_y 0
		.amdhsa_system_sgpr_workgroup_id_z 0
		.amdhsa_system_sgpr_workgroup_info 0
		.amdhsa_system_vgpr_workitem_id 0
		.amdhsa_next_free_vgpr 126
		.amdhsa_next_free_sgpr 38
		.amdhsa_reserve_vcc 1
		.amdhsa_float_round_mode_32 0
		.amdhsa_float_round_mode_16_64 0
		.amdhsa_float_denorm_mode_32 3
		.amdhsa_float_denorm_mode_16_64 3
		.amdhsa_fp16_overflow 0
		.amdhsa_workgroup_processor_mode 1
		.amdhsa_memory_ordered 1
		.amdhsa_forward_progress 0
		.amdhsa_round_robin_scheduling 0
		.amdhsa_exception_fp_ieee_invalid_op 0
		.amdhsa_exception_fp_denorm_src 0
		.amdhsa_exception_fp_ieee_div_zero 0
		.amdhsa_exception_fp_ieee_overflow 0
		.amdhsa_exception_fp_ieee_underflow 0
		.amdhsa_exception_fp_ieee_inexact 0
		.amdhsa_exception_int_div_zero 0
	.end_amdhsa_kernel
	.text
.Lfunc_end0:
	.size	fft_rtc_fwd_len1980_factors_11_2_3_3_5_2_wgs_198_tpt_198_halfLds_dp_ip_CI_sbrr_dirReg, .Lfunc_end0-fft_rtc_fwd_len1980_factors_11_2_3_3_5_2_wgs_198_tpt_198_halfLds_dp_ip_CI_sbrr_dirReg
                                        ; -- End function
	.section	.AMDGPU.csdata,"",@progbits
; Kernel info:
; codeLenInByte = 11436
; NumSgprs: 40
; NumVgprs: 126
; ScratchSize: 0
; MemoryBound: 1
; FloatMode: 240
; IeeeMode: 1
; LDSByteSize: 0 bytes/workgroup (compile time only)
; SGPRBlocks: 4
; VGPRBlocks: 15
; NumSGPRsForWavesPerEU: 40
; NumVGPRsForWavesPerEU: 126
; Occupancy: 10
; WaveLimiterHint : 1
; COMPUTE_PGM_RSRC2:SCRATCH_EN: 0
; COMPUTE_PGM_RSRC2:USER_SGPR: 2
; COMPUTE_PGM_RSRC2:TRAP_HANDLER: 0
; COMPUTE_PGM_RSRC2:TGID_X_EN: 1
; COMPUTE_PGM_RSRC2:TGID_Y_EN: 0
; COMPUTE_PGM_RSRC2:TGID_Z_EN: 0
; COMPUTE_PGM_RSRC2:TIDIG_COMP_CNT: 0
	.text
	.p2alignl 7, 3214868480
	.fill 96, 4, 3214868480
	.type	__hip_cuid_b3751e860776e7b3,@object ; @__hip_cuid_b3751e860776e7b3
	.section	.bss,"aw",@nobits
	.globl	__hip_cuid_b3751e860776e7b3
__hip_cuid_b3751e860776e7b3:
	.byte	0                               ; 0x0
	.size	__hip_cuid_b3751e860776e7b3, 1

	.ident	"AMD clang version 19.0.0git (https://github.com/RadeonOpenCompute/llvm-project roc-6.4.0 25133 c7fe45cf4b819c5991fe208aaa96edf142730f1d)"
	.section	".note.GNU-stack","",@progbits
	.addrsig
	.addrsig_sym __hip_cuid_b3751e860776e7b3
	.amdgpu_metadata
---
amdhsa.kernels:
  - .args:
      - .actual_access:  read_only
        .address_space:  global
        .offset:         0
        .size:           8
        .value_kind:     global_buffer
      - .offset:         8
        .size:           8
        .value_kind:     by_value
      - .actual_access:  read_only
        .address_space:  global
        .offset:         16
        .size:           8
        .value_kind:     global_buffer
      - .actual_access:  read_only
        .address_space:  global
        .offset:         24
        .size:           8
        .value_kind:     global_buffer
      - .offset:         32
        .size:           8
        .value_kind:     by_value
      - .actual_access:  read_only
        .address_space:  global
        .offset:         40
        .size:           8
        .value_kind:     global_buffer
      - .actual_access:  read_only
        .address_space:  global
        .offset:         48
        .size:           8
        .value_kind:     global_buffer
      - .offset:         56
        .size:           4
        .value_kind:     by_value
      - .actual_access:  read_only
        .address_space:  global
        .offset:         64
        .size:           8
        .value_kind:     global_buffer
      - .actual_access:  read_only
        .address_space:  global
        .offset:         72
        .size:           8
        .value_kind:     global_buffer
      - .address_space:  global
        .offset:         80
        .size:           8
        .value_kind:     global_buffer
    .group_segment_fixed_size: 0
    .kernarg_segment_align: 8
    .kernarg_segment_size: 88
    .language:       OpenCL C
    .language_version:
      - 2
      - 0
    .max_flat_workgroup_size: 198
    .name:           fft_rtc_fwd_len1980_factors_11_2_3_3_5_2_wgs_198_tpt_198_halfLds_dp_ip_CI_sbrr_dirReg
    .private_segment_fixed_size: 0
    .sgpr_count:     40
    .sgpr_spill_count: 0
    .symbol:         fft_rtc_fwd_len1980_factors_11_2_3_3_5_2_wgs_198_tpt_198_halfLds_dp_ip_CI_sbrr_dirReg.kd
    .uniform_work_group_size: 1
    .uses_dynamic_stack: false
    .vgpr_count:     126
    .vgpr_spill_count: 0
    .wavefront_size: 32
    .workgroup_processor_mode: 1
amdhsa.target:   amdgcn-amd-amdhsa--gfx1201
amdhsa.version:
  - 1
  - 2
...

	.end_amdgpu_metadata
